;; amdgpu-corpus repo=ROCm/rocFFT kind=compiled arch=gfx1201 opt=O3
	.text
	.amdgcn_target "amdgcn-amd-amdhsa--gfx1201"
	.amdhsa_code_object_version 6
	.protected	fft_rtc_back_len918_factors_17_9_2_3_wgs_102_tpt_102_halfLds_sp_ip_CI_unitstride_sbrr_C2R_dirReg ; -- Begin function fft_rtc_back_len918_factors_17_9_2_3_wgs_102_tpt_102_halfLds_sp_ip_CI_unitstride_sbrr_C2R_dirReg
	.globl	fft_rtc_back_len918_factors_17_9_2_3_wgs_102_tpt_102_halfLds_sp_ip_CI_unitstride_sbrr_C2R_dirReg
	.p2align	8
	.type	fft_rtc_back_len918_factors_17_9_2_3_wgs_102_tpt_102_halfLds_sp_ip_CI_unitstride_sbrr_C2R_dirReg,@function
fft_rtc_back_len918_factors_17_9_2_3_wgs_102_tpt_102_halfLds_sp_ip_CI_unitstride_sbrr_C2R_dirReg: ; @fft_rtc_back_len918_factors_17_9_2_3_wgs_102_tpt_102_halfLds_sp_ip_CI_unitstride_sbrr_C2R_dirReg
; %bb.0:
	s_clause 0x2
	s_load_b128 s[4:7], s[0:1], 0x0
	s_load_b64 s[8:9], s[0:1], 0x50
	s_load_b64 s[10:11], s[0:1], 0x18
	v_mul_u32_u24_e32 v1, 0x283, v0
	v_mov_b32_e32 v3, 0
	s_delay_alu instid0(VALU_DEP_2) | instskip(NEXT) | instid1(VALU_DEP_1)
	v_lshrrev_b32_e32 v1, 16, v1
	v_add_nc_u32_e32 v5, ttmp9, v1
	v_mov_b32_e32 v1, 0
	v_mov_b32_e32 v2, 0
	;; [unrolled: 1-line block ×3, first 2 shown]
	s_wait_kmcnt 0x0
	v_cmp_lt_u64_e64 s2, s[6:7], 2
	s_delay_alu instid0(VALU_DEP_1)
	s_and_b32 vcc_lo, exec_lo, s2
	s_cbranch_vccnz .LBB0_8
; %bb.1:
	s_load_b64 s[2:3], s[0:1], 0x10
	v_mov_b32_e32 v1, 0
	v_mov_b32_e32 v2, 0
	s_add_nc_u64 s[12:13], s[10:11], 8
	s_mov_b64 s[14:15], 1
	s_wait_kmcnt 0x0
	s_add_nc_u64 s[16:17], s[2:3], 8
	s_mov_b32 s3, 0
.LBB0_2:                                ; =>This Inner Loop Header: Depth=1
	s_load_b64 s[18:19], s[16:17], 0x0
                                        ; implicit-def: $vgpr7_vgpr8
	s_mov_b32 s2, exec_lo
	s_wait_kmcnt 0x0
	v_or_b32_e32 v4, s19, v6
	s_delay_alu instid0(VALU_DEP_1)
	v_cmpx_ne_u64_e32 0, v[3:4]
	s_wait_alu 0xfffe
	s_xor_b32 s20, exec_lo, s2
	s_cbranch_execz .LBB0_4
; %bb.3:                                ;   in Loop: Header=BB0_2 Depth=1
	s_cvt_f32_u32 s2, s18
	s_cvt_f32_u32 s21, s19
	s_sub_nc_u64 s[24:25], 0, s[18:19]
	s_wait_alu 0xfffe
	s_delay_alu instid0(SALU_CYCLE_1) | instskip(SKIP_1) | instid1(SALU_CYCLE_2)
	s_fmamk_f32 s2, s21, 0x4f800000, s2
	s_wait_alu 0xfffe
	v_s_rcp_f32 s2, s2
	s_delay_alu instid0(TRANS32_DEP_1) | instskip(SKIP_1) | instid1(SALU_CYCLE_2)
	s_mul_f32 s2, s2, 0x5f7ffffc
	s_wait_alu 0xfffe
	s_mul_f32 s21, s2, 0x2f800000
	s_wait_alu 0xfffe
	s_delay_alu instid0(SALU_CYCLE_2) | instskip(SKIP_1) | instid1(SALU_CYCLE_2)
	s_trunc_f32 s21, s21
	s_wait_alu 0xfffe
	s_fmamk_f32 s2, s21, 0xcf800000, s2
	s_cvt_u32_f32 s23, s21
	s_wait_alu 0xfffe
	s_delay_alu instid0(SALU_CYCLE_1) | instskip(SKIP_1) | instid1(SALU_CYCLE_2)
	s_cvt_u32_f32 s22, s2
	s_wait_alu 0xfffe
	s_mul_u64 s[26:27], s[24:25], s[22:23]
	s_wait_alu 0xfffe
	s_mul_hi_u32 s29, s22, s27
	s_mul_i32 s28, s22, s27
	s_mul_hi_u32 s2, s22, s26
	s_mul_i32 s30, s23, s26
	s_wait_alu 0xfffe
	s_add_nc_u64 s[28:29], s[2:3], s[28:29]
	s_mul_hi_u32 s21, s23, s26
	s_mul_hi_u32 s31, s23, s27
	s_add_co_u32 s2, s28, s30
	s_wait_alu 0xfffe
	s_add_co_ci_u32 s2, s29, s21
	s_mul_i32 s26, s23, s27
	s_add_co_ci_u32 s27, s31, 0
	s_wait_alu 0xfffe
	s_add_nc_u64 s[26:27], s[2:3], s[26:27]
	s_wait_alu 0xfffe
	v_add_co_u32 v4, s2, s22, s26
	s_delay_alu instid0(VALU_DEP_1) | instskip(SKIP_1) | instid1(VALU_DEP_1)
	s_cmp_lg_u32 s2, 0
	s_add_co_ci_u32 s23, s23, s27
	v_readfirstlane_b32 s22, v4
	s_wait_alu 0xfffe
	s_delay_alu instid0(VALU_DEP_1)
	s_mul_u64 s[24:25], s[24:25], s[22:23]
	s_wait_alu 0xfffe
	s_mul_hi_u32 s27, s22, s25
	s_mul_i32 s26, s22, s25
	s_mul_hi_u32 s2, s22, s24
	s_mul_i32 s28, s23, s24
	s_wait_alu 0xfffe
	s_add_nc_u64 s[26:27], s[2:3], s[26:27]
	s_mul_hi_u32 s21, s23, s24
	s_mul_hi_u32 s22, s23, s25
	s_wait_alu 0xfffe
	s_add_co_u32 s2, s26, s28
	s_add_co_ci_u32 s2, s27, s21
	s_mul_i32 s24, s23, s25
	s_add_co_ci_u32 s25, s22, 0
	s_wait_alu 0xfffe
	s_add_nc_u64 s[24:25], s[2:3], s[24:25]
	s_wait_alu 0xfffe
	v_add_co_u32 v4, s2, v4, s24
	s_delay_alu instid0(VALU_DEP_1) | instskip(SKIP_1) | instid1(VALU_DEP_1)
	s_cmp_lg_u32 s2, 0
	s_add_co_ci_u32 s2, s23, s25
	v_mul_hi_u32 v13, v5, v4
	s_wait_alu 0xfffe
	v_mad_co_u64_u32 v[7:8], null, v5, s2, 0
	v_mad_co_u64_u32 v[9:10], null, v6, v4, 0
	;; [unrolled: 1-line block ×3, first 2 shown]
	s_delay_alu instid0(VALU_DEP_3) | instskip(SKIP_1) | instid1(VALU_DEP_4)
	v_add_co_u32 v4, vcc_lo, v13, v7
	s_wait_alu 0xfffd
	v_add_co_ci_u32_e32 v7, vcc_lo, 0, v8, vcc_lo
	s_delay_alu instid0(VALU_DEP_2) | instskip(SKIP_1) | instid1(VALU_DEP_2)
	v_add_co_u32 v4, vcc_lo, v4, v9
	s_wait_alu 0xfffd
	v_add_co_ci_u32_e32 v4, vcc_lo, v7, v10, vcc_lo
	s_wait_alu 0xfffd
	v_add_co_ci_u32_e32 v7, vcc_lo, 0, v12, vcc_lo
	s_delay_alu instid0(VALU_DEP_2) | instskip(SKIP_1) | instid1(VALU_DEP_2)
	v_add_co_u32 v4, vcc_lo, v4, v11
	s_wait_alu 0xfffd
	v_add_co_ci_u32_e32 v9, vcc_lo, 0, v7, vcc_lo
	s_delay_alu instid0(VALU_DEP_2) | instskip(SKIP_1) | instid1(VALU_DEP_3)
	v_mul_lo_u32 v10, s19, v4
	v_mad_co_u64_u32 v[7:8], null, s18, v4, 0
	v_mul_lo_u32 v11, s18, v9
	s_delay_alu instid0(VALU_DEP_2) | instskip(NEXT) | instid1(VALU_DEP_2)
	v_sub_co_u32 v7, vcc_lo, v5, v7
	v_add3_u32 v8, v8, v11, v10
	s_delay_alu instid0(VALU_DEP_1) | instskip(SKIP_1) | instid1(VALU_DEP_1)
	v_sub_nc_u32_e32 v10, v6, v8
	s_wait_alu 0xfffd
	v_subrev_co_ci_u32_e64 v10, s2, s19, v10, vcc_lo
	v_add_co_u32 v11, s2, v4, 2
	s_wait_alu 0xf1ff
	v_add_co_ci_u32_e64 v12, s2, 0, v9, s2
	v_sub_co_u32 v13, s2, v7, s18
	v_sub_co_ci_u32_e32 v8, vcc_lo, v6, v8, vcc_lo
	s_wait_alu 0xf1ff
	v_subrev_co_ci_u32_e64 v10, s2, 0, v10, s2
	s_delay_alu instid0(VALU_DEP_3) | instskip(NEXT) | instid1(VALU_DEP_3)
	v_cmp_le_u32_e32 vcc_lo, s18, v13
	v_cmp_eq_u32_e64 s2, s19, v8
	s_wait_alu 0xfffd
	v_cndmask_b32_e64 v13, 0, -1, vcc_lo
	v_cmp_le_u32_e32 vcc_lo, s19, v10
	s_wait_alu 0xfffd
	v_cndmask_b32_e64 v14, 0, -1, vcc_lo
	v_cmp_le_u32_e32 vcc_lo, s18, v7
	;; [unrolled: 3-line block ×3, first 2 shown]
	s_wait_alu 0xfffd
	v_cndmask_b32_e64 v15, 0, -1, vcc_lo
	v_cmp_eq_u32_e32 vcc_lo, s19, v10
	s_wait_alu 0xf1ff
	s_delay_alu instid0(VALU_DEP_2)
	v_cndmask_b32_e64 v7, v15, v7, s2
	s_wait_alu 0xfffd
	v_cndmask_b32_e32 v10, v14, v13, vcc_lo
	v_add_co_u32 v13, vcc_lo, v4, 1
	s_wait_alu 0xfffd
	v_add_co_ci_u32_e32 v14, vcc_lo, 0, v9, vcc_lo
	s_delay_alu instid0(VALU_DEP_3) | instskip(SKIP_2) | instid1(VALU_DEP_3)
	v_cmp_ne_u32_e32 vcc_lo, 0, v10
	s_wait_alu 0xfffd
	v_cndmask_b32_e32 v10, v13, v11, vcc_lo
	v_cndmask_b32_e32 v8, v14, v12, vcc_lo
	v_cmp_ne_u32_e32 vcc_lo, 0, v7
	s_wait_alu 0xfffd
	s_delay_alu instid0(VALU_DEP_2)
	v_dual_cndmask_b32 v7, v4, v10 :: v_dual_cndmask_b32 v8, v9, v8
.LBB0_4:                                ;   in Loop: Header=BB0_2 Depth=1
	s_wait_alu 0xfffe
	s_and_not1_saveexec_b32 s2, s20
	s_cbranch_execz .LBB0_6
; %bb.5:                                ;   in Loop: Header=BB0_2 Depth=1
	v_cvt_f32_u32_e32 v4, s18
	s_sub_co_i32 s20, 0, s18
	s_delay_alu instid0(VALU_DEP_1) | instskip(NEXT) | instid1(TRANS32_DEP_1)
	v_rcp_iflag_f32_e32 v4, v4
	v_mul_f32_e32 v4, 0x4f7ffffe, v4
	s_delay_alu instid0(VALU_DEP_1) | instskip(SKIP_1) | instid1(VALU_DEP_1)
	v_cvt_u32_f32_e32 v4, v4
	s_wait_alu 0xfffe
	v_mul_lo_u32 v7, s20, v4
	s_delay_alu instid0(VALU_DEP_1) | instskip(NEXT) | instid1(VALU_DEP_1)
	v_mul_hi_u32 v7, v4, v7
	v_add_nc_u32_e32 v4, v4, v7
	s_delay_alu instid0(VALU_DEP_1) | instskip(NEXT) | instid1(VALU_DEP_1)
	v_mul_hi_u32 v4, v5, v4
	v_mul_lo_u32 v7, v4, s18
	v_add_nc_u32_e32 v8, 1, v4
	s_delay_alu instid0(VALU_DEP_2) | instskip(NEXT) | instid1(VALU_DEP_1)
	v_sub_nc_u32_e32 v7, v5, v7
	v_subrev_nc_u32_e32 v9, s18, v7
	v_cmp_le_u32_e32 vcc_lo, s18, v7
	s_wait_alu 0xfffd
	s_delay_alu instid0(VALU_DEP_2) | instskip(NEXT) | instid1(VALU_DEP_1)
	v_dual_cndmask_b32 v7, v7, v9 :: v_dual_cndmask_b32 v4, v4, v8
	v_cmp_le_u32_e32 vcc_lo, s18, v7
	s_delay_alu instid0(VALU_DEP_2) | instskip(SKIP_1) | instid1(VALU_DEP_1)
	v_add_nc_u32_e32 v8, 1, v4
	s_wait_alu 0xfffd
	v_dual_cndmask_b32 v7, v4, v8 :: v_dual_mov_b32 v8, v3
.LBB0_6:                                ;   in Loop: Header=BB0_2 Depth=1
	s_wait_alu 0xfffe
	s_or_b32 exec_lo, exec_lo, s2
	s_load_b64 s[20:21], s[12:13], 0x0
	s_delay_alu instid0(VALU_DEP_1)
	v_mul_lo_u32 v4, v8, s18
	v_mul_lo_u32 v11, v7, s19
	v_mad_co_u64_u32 v[9:10], null, v7, s18, 0
	s_add_nc_u64 s[14:15], s[14:15], 1
	s_add_nc_u64 s[12:13], s[12:13], 8
	s_wait_alu 0xfffe
	v_cmp_ge_u64_e64 s2, s[14:15], s[6:7]
	s_add_nc_u64 s[16:17], s[16:17], 8
	s_delay_alu instid0(VALU_DEP_2) | instskip(NEXT) | instid1(VALU_DEP_3)
	v_add3_u32 v4, v10, v11, v4
	v_sub_co_u32 v5, vcc_lo, v5, v9
	s_wait_alu 0xfffd
	s_delay_alu instid0(VALU_DEP_2) | instskip(SKIP_3) | instid1(VALU_DEP_2)
	v_sub_co_ci_u32_e32 v4, vcc_lo, v6, v4, vcc_lo
	s_and_b32 vcc_lo, exec_lo, s2
	s_wait_kmcnt 0x0
	v_mul_lo_u32 v6, s21, v5
	v_mul_lo_u32 v4, s20, v4
	v_mad_co_u64_u32 v[1:2], null, s20, v5, v[1:2]
	s_delay_alu instid0(VALU_DEP_1)
	v_add3_u32 v2, v6, v2, v4
	s_wait_alu 0xfffe
	s_cbranch_vccnz .LBB0_9
; %bb.7:                                ;   in Loop: Header=BB0_2 Depth=1
	v_dual_mov_b32 v5, v7 :: v_dual_mov_b32 v6, v8
	s_branch .LBB0_2
.LBB0_8:
	v_dual_mov_b32 v8, v6 :: v_dual_mov_b32 v7, v5
.LBB0_9:
	s_lshl_b64 s[2:3], s[6:7], 3
	v_mul_hi_u32 v4, 0x2828283, v0
	s_wait_alu 0xfffe
	s_add_nc_u64 s[2:3], s[10:11], s[2:3]
	s_load_b64 s[2:3], s[2:3], 0x0
	s_load_b64 s[0:1], s[0:1], 0x20
	s_wait_kmcnt 0x0
	v_mul_lo_u32 v5, s2, v8
	v_mul_lo_u32 v6, s3, v7
	v_mad_co_u64_u32 v[2:3], null, s2, v7, v[1:2]
	v_mul_u32_u24_e32 v1, 0x66, v4
	v_cmp_gt_u64_e32 vcc_lo, s[0:1], v[7:8]
	s_delay_alu instid0(VALU_DEP_2) | instskip(NEXT) | instid1(VALU_DEP_4)
	v_sub_nc_u32_e32 v0, v0, v1
	v_add3_u32 v3, v6, v3, v5
	s_delay_alu instid0(VALU_DEP_2) | instskip(NEXT) | instid1(VALU_DEP_2)
	v_dual_mov_b32 v1, 0 :: v_dual_mov_b32 v32, v0
	v_lshlrev_b64_e32 v[34:35], 3, v[2:3]
	s_and_saveexec_b32 s1, vcc_lo
	s_cbranch_execz .LBB0_13
; %bb.10:
	s_delay_alu instid0(VALU_DEP_2) | instskip(NEXT) | instid1(VALU_DEP_2)
	v_lshlrev_b64_e32 v[4:5], 3, v[0:1]
	v_add_co_u32 v2, s0, s8, v34
	s_wait_alu 0xf1ff
	v_add_co_ci_u32_e64 v3, s0, s9, v35, s0
	v_lshl_add_u32 v24, v0, 3, 0
	s_delay_alu instid0(VALU_DEP_3) | instskip(SKIP_1) | instid1(VALU_DEP_3)
	v_add_co_u32 v4, s0, v2, v4
	s_wait_alu 0xf1ff
	v_add_co_ci_u32_e64 v5, s0, v3, v5, s0
	s_delay_alu instid0(VALU_DEP_3)
	v_add_nc_u32_e32 v26, 0x800, v24
	v_add_nc_u32_e32 v25, 0x400, v24
	;; [unrolled: 1-line block ×3, first 2 shown]
	s_clause 0x8
	global_load_b64 v[6:7], v[4:5], off
	global_load_b64 v[8:9], v[4:5], off offset:816
	global_load_b64 v[10:11], v[4:5], off offset:1632
	;; [unrolled: 1-line block ×8, first 2 shown]
	v_dual_mov_b32 v5, v1 :: v_dual_mov_b32 v4, v0
	s_mov_b32 s2, exec_lo
	s_wait_loadcnt 0x7
	ds_store_2addr_b64 v24, v[6:7], v[8:9] offset1:102
	s_wait_loadcnt 0x5
	ds_store_2addr_b64 v25, v[10:11], v[12:13] offset0:76 offset1:178
	s_wait_loadcnt 0x3
	ds_store_2addr_b64 v26, v[14:15], v[16:17] offset0:152 offset1:254
	;; [unrolled: 2-line block ×3, first 2 shown]
	s_wait_loadcnt 0x0
	ds_store_b64 v24, v[22:23] offset:6528
	v_cmpx_eq_u32_e32 0x65, v0
	s_cbranch_execz .LBB0_12
; %bb.11:
	global_load_b64 v[1:2], v[2:3], off offset:7344
	v_dual_mov_b32 v3, 0 :: v_dual_mov_b32 v4, 0x65
	v_dual_mov_b32 v5, 0 :: v_dual_mov_b32 v0, 0x65
	s_wait_loadcnt 0x0
	ds_store_b64 v3, v[1:2] offset:7344
.LBB0_12:
	s_wait_alu 0xfffe
	s_or_b32 exec_lo, exec_lo, s2
	v_mov_b32_e32 v32, v0
	v_dual_mov_b32 v0, v4 :: v_dual_mov_b32 v1, v5
.LBB0_13:
	s_wait_alu 0xfffe
	s_or_b32 exec_lo, exec_lo, s1
	s_delay_alu instid0(VALU_DEP_2)
	v_lshlrev_b32_e32 v2, 3, v32
	global_wb scope:SCOPE_SE
	s_wait_dscnt 0x0
	s_barrier_signal -1
	s_barrier_wait -1
	global_inv scope:SCOPE_SE
	v_add_nc_u32_e32 v48, 0, v2
	v_sub_nc_u32_e32 v4, 0, v2
	v_lshlrev_b64_e32 v[36:37], 3, v[0:1]
	s_mov_b32 s1, exec_lo
	ds_load_b32 v5, v48
	ds_load_b32 v6, v4 offset:7344
	s_wait_dscnt 0x0
	v_dual_sub_f32 v3, v5, v6 :: v_dual_add_f32 v2, v6, v5
	v_cmpx_ne_u32_e32 0, v32
	s_wait_alu 0xfffe
	s_xor_b32 s1, exec_lo, s1
	s_cbranch_execz .LBB0_15
; %bb.14:
	v_add_co_u32 v0, s0, s4, v36
	s_wait_alu 0xf1ff
	v_add_co_ci_u32_e64 v1, s0, s5, v37, s0
	v_dual_add_f32 v7, v6, v5 :: v_dual_sub_f32 v8, v5, v6
	global_load_b64 v[0:1], v[0:1], off offset:7208
	ds_load_b32 v2, v4 offset:7348
	ds_load_b32 v3, v48 offset:4
	s_wait_dscnt 0x0
	v_dual_add_f32 v9, v2, v3 :: v_dual_sub_f32 v2, v3, v2
	s_wait_loadcnt 0x0
	v_fma_f32 v5, -v8, v1, v7
	s_delay_alu instid0(VALU_DEP_2) | instskip(SKIP_2) | instid1(VALU_DEP_4)
	v_fma_f32 v6, v9, v1, -v2
	v_fma_f32 v10, v8, v1, v7
	v_fma_f32 v3, v9, v1, v2
	v_fmac_f32_e32 v5, v0, v9
	s_delay_alu instid0(VALU_DEP_4) | instskip(NEXT) | instid1(VALU_DEP_4)
	v_fmac_f32_e32 v6, v8, v0
	v_fma_f32 v2, -v0, v9, v10
	s_delay_alu instid0(VALU_DEP_4)
	v_fmac_f32_e32 v3, v8, v0
	ds_store_b64 v4, v[5:6] offset:7344
.LBB0_15:
	s_wait_alu 0xfffe
	s_and_not1_saveexec_b32 s0, s1
	s_cbranch_execz .LBB0_17
; %bb.16:
	v_mov_b32_e32 v5, 0
	ds_load_b64 v[0:1], v5 offset:3672
	s_wait_dscnt 0x0
	v_dual_add_f32 v0, v0, v0 :: v_dual_mul_f32 v1, -2.0, v1
	ds_store_b64 v5, v[0:1] offset:3672
.LBB0_17:
	s_wait_alu 0xfffe
	s_or_b32 exec_lo, exec_lo, s0
	v_mov_b32_e32 v33, 0
	s_add_nc_u64 s[0:1], s[4:5], 0x1c28
	s_delay_alu instid0(VALU_DEP_1) | instskip(SKIP_1) | instid1(VALU_DEP_1)
	v_lshlrev_b64_e32 v[38:39], 3, v[32:33]
	s_wait_alu 0xfffe
	v_add_co_u32 v0, s0, s0, v38
	s_wait_alu 0xf1ff
	s_delay_alu instid0(VALU_DEP_2)
	v_add_co_ci_u32_e64 v1, s0, s1, v39, s0
	v_cmp_gt_u32_e64 s0, 51, v32
	s_clause 0x2
	global_load_b64 v[5:6], v[0:1], off offset:816
	global_load_b64 v[7:8], v[0:1], off offset:1632
	;; [unrolled: 1-line block ×3, first 2 shown]
	ds_store_b64 v48, v[2:3]
	ds_load_b64 v[2:3], v48 offset:816
	ds_load_b64 v[11:12], v4 offset:6528
	s_wait_dscnt 0x0
	v_add_f32_e32 v14, v12, v3
	v_add_f32_e32 v13, v2, v11
	v_dual_sub_f32 v15, v2, v11 :: v_dual_sub_f32 v2, v3, v12
	s_wait_loadcnt 0x2
	s_delay_alu instid0(VALU_DEP_1) | instskip(NEXT) | instid1(VALU_DEP_2)
	v_fma_f32 v16, v15, v6, v13
	v_fma_f32 v3, v14, v6, v2
	v_fma_f32 v11, -v15, v6, v13
	v_fma_f32 v12, v14, v6, -v2
	s_delay_alu instid0(VALU_DEP_4) | instskip(NEXT) | instid1(VALU_DEP_4)
	v_fma_f32 v2, -v5, v14, v16
	v_fmac_f32_e32 v3, v15, v5
	s_delay_alu instid0(VALU_DEP_3)
	v_dual_fmac_f32 v11, v5, v14 :: v_dual_fmac_f32 v12, v15, v5
	ds_store_b64 v48, v[2:3] offset:816
	ds_store_b64 v4, v[11:12] offset:6528
	ds_load_b64 v[2:3], v48 offset:1632
	ds_load_b64 v[5:6], v4 offset:5712
	s_wait_dscnt 0x0
	v_add_f32_e32 v11, v2, v5
	v_add_f32_e32 v12, v6, v3
	v_dual_sub_f32 v13, v2, v5 :: v_dual_sub_f32 v2, v3, v6
	s_wait_loadcnt 0x1
	s_delay_alu instid0(VALU_DEP_1) | instskip(NEXT) | instid1(VALU_DEP_2)
	v_fma_f32 v14, v13, v8, v11
	v_fma_f32 v3, v12, v8, v2
	v_fma_f32 v5, -v13, v8, v11
	v_fma_f32 v6, v12, v8, -v2
	s_delay_alu instid0(VALU_DEP_4) | instskip(NEXT) | instid1(VALU_DEP_4)
	v_fma_f32 v2, -v7, v12, v14
	v_fmac_f32_e32 v3, v13, v7
	s_delay_alu instid0(VALU_DEP_3)
	v_dual_fmac_f32 v5, v7, v12 :: v_dual_fmac_f32 v6, v13, v7
	ds_store_b64 v48, v[2:3] offset:1632
	ds_store_b64 v4, v[5:6] offset:5712
	;; [unrolled: 19-line block ×3, first 2 shown]
	s_and_saveexec_b32 s1, s0
	s_cbranch_execz .LBB0_19
; %bb.18:
	global_load_b64 v[0:1], v[0:1], off offset:3264
	ds_load_b64 v[2:3], v48 offset:3264
	ds_load_b64 v[5:6], v4 offset:4080
	s_wait_dscnt 0x0
	v_dual_add_f32 v8, v6, v3 :: v_dual_sub_f32 v3, v3, v6
	v_sub_f32_e32 v9, v2, v5
	v_add_f32_e32 v7, v2, v5
	s_wait_loadcnt 0x0
	s_delay_alu instid0(VALU_DEP_3) | instskip(SKIP_1) | instid1(VALU_DEP_2)
	v_fma_f32 v2, v8, v1, v3
	v_fma_f32 v6, v8, v1, -v3
	v_fmac_f32_e32 v2, v9, v0
	v_fma_f32 v10, v9, v1, v7
	v_fma_f32 v5, -v9, v1, v7
	s_delay_alu instid0(VALU_DEP_4) | instskip(NEXT) | instid1(VALU_DEP_3)
	v_fmac_f32_e32 v6, v9, v0
	v_fma_f32 v1, -v0, v8, v10
	s_delay_alu instid0(VALU_DEP_3)
	v_fmac_f32_e32 v5, v0, v8
	ds_store_b64 v48, v[1:2] offset:3264
	ds_store_b64 v4, v[5:6] offset:4080
.LBB0_19:
	s_wait_alu 0xfffe
	s_or_b32 exec_lo, exec_lo, s1
	global_wb scope:SCOPE_SE
	s_wait_dscnt 0x0
	s_barrier_signal -1
	s_barrier_wait -1
	global_inv scope:SCOPE_SE
	global_wb scope:SCOPE_SE
	s_barrier_signal -1
	s_barrier_wait -1
	global_inv scope:SCOPE_SE
	ds_load_2addr_b64 v[0:3], v48 offset1:54
	ds_load_b64 v[46:47], v48 offset:6912
	v_add_nc_u32_e32 v4, 0x1400, v48
	v_add_nc_u32_e32 v49, 0x400, v48
	;; [unrolled: 1-line block ×3, first 2 shown]
	s_mov_b32 s2, exec_lo
	s_wait_dscnt 0x0
	v_add_f32_e32 v75, v47, v3
	v_sub_f32_e32 v67, v3, v47
	ds_load_2addr_b64 v[28:31], v48 offset0:108 offset1:162
	ds_load_2addr_b64 v[4:7], v4 offset0:116 offset1:170
	v_dual_sub_f32 v56, v2, v46 :: v_dual_add_nc_u32 v33, 0x1000, v48
	v_dual_add_f32 v51, v46, v2 :: v_dual_mul_f32 v42, 0xbe3c28d5, v67
	v_mul_f32_e32 v83, 0xbf7ba420, v75
	s_delay_alu instid0(VALU_DEP_2) | instskip(NEXT) | instid1(VALU_DEP_1)
	v_fma_f32 v40, 0xbf7ba420, v51, -v42
	v_add_f32_e32 v40, v0, v40
	s_wait_dscnt 0x0
	v_add_f32_e32 v52, v6, v28
	v_sub_f32_e32 v68, v29, v7
	ds_load_2addr_b64 v[24:27], v49 offset0:88 offset1:142
	ds_load_2addr_b64 v[20:23], v50 offset0:68 offset1:122
	;; [unrolled: 1-line block ×5, first 2 shown]
	v_add_f32_e32 v77, v7, v29
	v_sub_f32_e32 v69, v31, v5
	v_dual_mul_f32 v43, 0x3eb8f4ab, v68 :: v_dual_add_f32 v54, v4, v30
	s_delay_alu instid0(VALU_DEP_3)
	v_dual_sub_f32 v53, v28, v6 :: v_dual_mul_f32 v84, 0x3f6eb680, v77
	global_wb scope:SCOPE_SE
	s_wait_dscnt 0x0
	v_fma_f32 v45, 0x3f6eb680, v52, -v43
	v_fmamk_f32 v41, v56, 0xbe3c28d5, v83
	s_barrier_signal -1
	v_fmamk_f32 v57, v53, 0x3eb8f4ab, v84
	s_barrier_wait -1
	v_add_f32_e32 v40, v45, v40
	global_inv scope:SCOPE_SE
	v_dual_sub_f32 v71, v17, v19 :: v_dual_sub_f32 v66, v16, v18
	v_dual_sub_f32 v58, v24, v10 :: v_dual_add_f32 v79, v5, v31
	v_mul_f32_e32 v44, 0xbf06c442, v69
	v_dual_add_f32 v78, v11, v25 :: v_dual_sub_f32 v55, v30, v4
	v_dual_sub_f32 v73, v25, v11 :: v_dual_sub_f32 v76, v27, v9
	s_delay_alu instid0(VALU_DEP_3) | instskip(SKIP_1) | instid1(VALU_DEP_4)
	v_fma_f32 v59, 0xbf59a7d5, v54, -v44
	v_mul_f32_e32 v89, 0xbf59a7d5, v79
	v_mul_f32_e32 v90, 0x3f3d2fb0, v78
	v_add_f32_e32 v80, v9, v27
	v_mul_f32_e32 v86, 0xbf4c4adb, v76
	v_dual_add_f32 v40, v59, v40 :: v_dual_add_f32 v41, v1, v41
	v_fmamk_f32 v60, v55, 0xbf06c442, v89
	v_mul_f32_e32 v45, 0x3f2c7751, v73
	v_dual_fmamk_f32 v61, v58, 0x3f2c7751, v90 :: v_dual_sub_f32 v74, v21, v15
	s_delay_alu instid0(VALU_DEP_4) | instskip(SKIP_3) | instid1(VALU_DEP_4)
	v_add_f32_e32 v41, v57, v41
	v_add_f32_e32 v57, v10, v24
	v_dual_mul_f32 v91, 0xbf1a4643, v80 :: v_dual_sub_f32 v62, v20, v14
	v_dual_add_f32 v81, v15, v21 :: v_dual_add_f32 v82, v13, v23
	v_add_f32_e32 v41, v60, v41
	s_delay_alu instid0(VALU_DEP_4) | instskip(NEXT) | instid1(VALU_DEP_3)
	v_fma_f32 v60, 0x3f3d2fb0, v57, -v45
	v_dual_add_f32 v59, v8, v26 :: v_dual_mul_f32 v92, 0x3ee437d1, v81
	s_delay_alu instid0(VALU_DEP_4) | instskip(SKIP_1) | instid1(VALU_DEP_4)
	v_dual_sub_f32 v70, v23, v13 :: v_dual_mul_f32 v93, 0xbe8c1d8e, v82
	v_add_f32_e32 v72, v19, v17
	v_add_f32_e32 v40, v60, v40
	v_dual_sub_f32 v60, v26, v8 :: v_dual_add_f32 v41, v61, v41
	v_fma_f32 v63, 0xbf1a4643, v59, -v86
	v_add_f32_e32 v61, v14, v20
	v_mul_f32_e32 v87, 0x3f65296c, v74
	s_delay_alu instid0(VALU_DEP_4) | instskip(SKIP_2) | instid1(VALU_DEP_3)
	v_fmamk_f32 v64, v60, 0xbf4c4adb, v91
	v_mul_f32_e32 v88, 0xbf763a35, v70
	v_dual_add_f32 v40, v63, v40 :: v_dual_add_f32 v63, v12, v22
	v_add_f32_e32 v41, v64, v41
	v_fma_f32 v64, 0x3ee437d1, v61, -v87
	s_delay_alu instid0(VALU_DEP_1) | instskip(NEXT) | instid1(VALU_DEP_1)
	v_dual_fmamk_f32 v65, v62, 0x3f65296c, v92 :: v_dual_add_f32 v40, v64, v40
	v_dual_sub_f32 v64, v22, v12 :: v_dual_add_f32 v41, v65, v41
	v_fma_f32 v95, 0xbe8c1d8e, v63, -v88
	v_add_f32_e32 v65, v18, v16
	v_mul_f32_e32 v85, 0x3f7ee86f, v71
	s_delay_alu instid0(VALU_DEP_4) | instskip(SKIP_2) | instid1(VALU_DEP_4)
	v_fmamk_f32 v96, v64, 0xbf763a35, v93
	v_mul_f32_e32 v94, 0x3dbcf732, v72
	v_add_f32_e32 v40, v95, v40
	v_fma_f32 v95, 0x3dbcf732, v65, -v85
	s_delay_alu instid0(VALU_DEP_3) | instskip(NEXT) | instid1(VALU_DEP_1)
	v_dual_add_f32 v41, v96, v41 :: v_dual_fmamk_f32 v96, v66, 0x3f7ee86f, v94
	v_dual_add_f32 v40, v95, v40 :: v_dual_add_f32 v41, v96, v41
	v_cmpx_gt_u32_e32 54, v32
	s_cbranch_execz .LBB0_21
; %bb.20:
	v_mul_f32_e32 v98, 0x3eb8f4ab, v53
	v_mul_f32_e32 v95, 0xbe3c28d5, v56
	;; [unrolled: 1-line block ×5, first 2 shown]
	s_delay_alu instid0(VALU_DEP_4) | instskip(NEXT) | instid1(VALU_DEP_4)
	v_dual_sub_f32 v84, v84, v98 :: v_dual_sub_f32 v83, v83, v95
	v_dual_mul_f32 v100, 0x3f3d2fb0, v57 :: v_dual_sub_f32 v91, v91, v102
	s_delay_alu instid0(VALU_DEP_4) | instskip(NEXT) | instid1(VALU_DEP_3)
	v_dual_mul_f32 v95, 0xbf06c442, v55 :: v_dual_add_f32 v42, v96, v42
	v_add_f32_e32 v83, v1, v83
	v_mul_f32_e32 v103, 0x3ee437d1, v61
	s_delay_alu instid0(VALU_DEP_4) | instskip(NEXT) | instid1(VALU_DEP_4)
	v_add_f32_e32 v45, v100, v45
	v_dual_sub_f32 v89, v89, v95 :: v_dual_add_f32 v42, v0, v42
	s_delay_alu instid0(VALU_DEP_4) | instskip(SKIP_3) | instid1(VALU_DEP_4)
	v_dual_add_f32 v83, v84, v83 :: v_dual_mul_f32 v84, 0x3f65296c, v62
	v_mul_f32_e32 v99, 0xbf59a7d5, v54
	v_mul_f32_e32 v110, 0x3f763a35, v68
	v_dual_mul_f32 v109, 0xbf4c4adb, v67 :: v_dual_add_f32 v2, v0, v2
	v_dual_sub_f32 v84, v92, v84 :: v_dual_mul_f32 v101, 0x3f2c7751, v58
	s_delay_alu instid0(VALU_DEP_4) | instskip(SKIP_2) | instid1(VALU_DEP_4)
	v_add_f32_e32 v44, v99, v44
	v_mul_f32_e32 v97, 0x3f6eb680, v52
	v_dual_add_f32 v83, v89, v83 :: v_dual_fmamk_f32 v102, v52, 0xbe8c1d8e, v110
	v_dual_sub_f32 v90, v90, v101 :: v_dual_fmamk_f32 v101, v63, 0x3f3d2fb0, v107
	s_delay_alu instid0(VALU_DEP_3) | instskip(SKIP_2) | instid1(VALU_DEP_4)
	v_add_f32_e32 v43, v97, v43
	v_mul_f32_e32 v95, 0xbe8c1d8e, v63
	v_mul_f32_e32 v97, 0xbf7ba420, v81
	v_dual_add_f32 v83, v90, v83 :: v_dual_mul_f32 v90, 0x3dbcf732, v65
	s_delay_alu instid0(VALU_DEP_4) | instskip(SKIP_2) | instid1(VALU_DEP_3)
	v_dual_add_f32 v42, v43, v42 :: v_dual_mul_f32 v89, 0xbf763a35, v64
	v_mul_f32_e32 v105, 0xbeb8f4ab, v76
	v_add_f32_e32 v3, v1, v3
	v_dual_mul_f32 v125, 0x3dbcf732, v75 :: v_dual_add_f32 v42, v44, v42
	s_delay_alu instid0(VALU_DEP_4) | instskip(SKIP_1) | instid1(VALU_DEP_3)
	v_dual_mul_f32 v98, 0xbf1a4643, v59 :: v_dual_sub_f32 v89, v93, v89
	v_dual_add_f32 v43, v91, v83 :: v_dual_mul_f32 v44, 0x3f7ee86f, v66
	v_dual_add_f32 v42, v45, v42 :: v_dual_mul_f32 v83, 0xbf59a7d5, v75
	s_delay_alu instid0(VALU_DEP_3) | instskip(NEXT) | instid1(VALU_DEP_3)
	v_add_f32_e32 v45, v98, v86
	v_dual_add_f32 v43, v84, v43 :: v_dual_mul_f32 v84, 0x3ee437d1, v77
	s_delay_alu instid0(VALU_DEP_4) | instskip(SKIP_1) | instid1(VALU_DEP_4)
	v_sub_f32_e32 v44, v94, v44
	v_mul_f32_e32 v96, 0x3f6eb680, v80
	v_dual_add_f32 v42, v45, v42 :: v_dual_add_f32 v45, v103, v87
	v_fmamk_f32 v91, v56, 0x3f06c442, v83
	v_mul_f32_e32 v87, 0xbf1a4643, v78
	v_add_f32_e32 v43, v89, v43
	v_mul_f32_e32 v86, 0x3dbcf732, v79
	v_add_f32_e32 v42, v45, v42
	v_add_f32_e32 v89, v1, v91
	v_dual_add_f32 v45, v95, v88 :: v_dual_fmamk_f32 v88, v58, 0xbf4c4adb, v87
	v_fmamk_f32 v91, v53, 0xbf65296c, v84
	v_add_f32_e32 v43, v44, v43
	v_mul_f32_e32 v103, 0xbf7ee86f, v69
	v_add_f32_e32 v3, v3, v29
	v_mul_f32_e32 v111, 0xbeb8f4ab, v69
	v_add_f32_e32 v44, v91, v89
	v_fmamk_f32 v89, v55, 0x3f7ee86f, v86
	v_mul_f32_e32 v133, 0x3f2c7751, v71
	v_mul_f32_e32 v145, 0x3f3d2fb0, v75
	;; [unrolled: 1-line block ×4, first 2 shown]
	v_dual_add_f32 v44, v89, v44 :: v_dual_mul_f32 v89, 0x3f3d2fb0, v82
	v_dual_add_f32 v85, v90, v85 :: v_dual_fmamk_f32 v130, v65, 0x3f3d2fb0, v133
	s_delay_alu instid0(VALU_DEP_2) | instskip(SKIP_4) | instid1(VALU_DEP_4)
	v_dual_mul_f32 v135, 0xbf06c442, v74 :: v_dual_add_f32 v44, v88, v44
	v_fmamk_f32 v88, v60, 0x3eb8f4ab, v96
	v_dual_add_f32 v42, v45, v42 :: v_dual_mul_f32 v143, 0x3f2c7751, v76
	v_mul_f32_e32 v141, 0x3e3c28d5, v69
	v_mul_f32_e32 v147, 0xbf59a7d5, v72
	v_add_f32_e32 v44, v88, v44
	v_fmamk_f32 v88, v62, 0x3e3c28d5, v97
	v_fmamk_f32 v131, v59, 0x3f3d2fb0, v143
	v_mul_f32_e32 v142, 0x3f763a35, v73
	v_mul_f32_e32 v155, 0x3ee437d1, v82
	s_delay_alu instid0(VALU_DEP_4) | instskip(SKIP_4) | instid1(VALU_DEP_3)
	v_dual_mul_f32 v163, 0xbf65296c, v69 :: v_dual_add_f32 v44, v88, v44
	v_fmamk_f32 v88, v64, 0xbf2c7751, v89
	v_dual_mul_f32 v99, 0xbf06c442, v67 :: v_dual_add_f32 v42, v85, v42
	v_fmamk_f32 v85, v59, 0x3f6eb680, v105
	v_mul_f32_e32 v90, 0xbf1a4643, v75
	v_dual_add_f32 v44, v88, v44 :: v_dual_fmamk_f32 v45, v51, 0xbf59a7d5, v99
	v_mul_f32_e32 v100, 0x3f65296c, v68
	v_mul_f32_e32 v88, 0xbe8c1d8e, v72
	s_delay_alu instid0(VALU_DEP_4) | instskip(SKIP_3) | instid1(VALU_DEP_4)
	v_fmamk_f32 v92, v56, 0x3f4c4adb, v90
	v_mul_f32_e32 v104, 0x3f4c4adb, v73
	v_add_f32_e32 v45, v0, v45
	v_fmamk_f32 v91, v52, 0x3ee437d1, v100
	v_dual_fmamk_f32 v158, v64, 0xbf65296c, v155 :: v_dual_add_f32 v93, v1, v92
	v_mul_f32_e32 v92, 0x3f6eb680, v79
	s_delay_alu instid0(VALU_DEP_3) | instskip(SKIP_3) | instid1(VALU_DEP_4)
	v_dual_mul_f32 v152, 0xbf06c442, v71 :: v_dual_add_f32 v45, v91, v45
	v_fmamk_f32 v91, v54, 0x3dbcf732, v103
	v_mul_f32_e32 v112, 0xbe3c28d5, v74
	v_mul_f32_e32 v153, 0xbf59a7d5, v80
	v_fmamk_f32 v157, v65, 0xbf59a7d5, v152
	s_delay_alu instid0(VALU_DEP_4) | instskip(SKIP_4) | instid1(VALU_DEP_4)
	v_dual_fmac_f32 v96, 0xbeb8f4ab, v60 :: v_dual_add_f32 v45, v91, v45
	v_fmamk_f32 v91, v57, 0xbf1a4643, v104
	v_fmac_f32_e32 v83, 0xbf06c442, v56
	v_fmac_f32_e32 v90, 0xbf4c4adb, v56
	v_add_f32_e32 v2, v2, v28
	v_dual_mul_f32 v28, 0xbf7ba420, v80 :: v_dual_add_f32 v45, v91, v45
	v_mul_f32_e32 v91, 0xbe8c1d8e, v77
	v_fmamk_f32 v95, v66, 0x3f763a35, v88
	s_delay_alu instid0(VALU_DEP_4) | instskip(NEXT) | instid1(VALU_DEP_4)
	v_add_f32_e32 v2, v2, v30
	v_dual_fmac_f32 v88, 0xbf763a35, v66 :: v_dual_add_f32 v45, v85, v45
	v_fmamk_f32 v85, v61, 0xbf7ba420, v112
	v_fmamk_f32 v94, v53, 0xbf763a35, v91
	s_delay_alu instid0(VALU_DEP_4)
	v_add_f32_e32 v2, v2, v24
	v_mul_f32_e32 v126, 0x3f763a35, v69
	v_mul_f32_e32 v132, 0xbf1a4643, v82
	v_dual_add_f32 v98, v85, v45 :: v_dual_add_f32 v45, v95, v44
	v_dual_add_f32 v93, v94, v93 :: v_dual_fmamk_f32 v94, v55, 0x3eb8f4ab, v92
	v_fmac_f32_e32 v92, 0xbeb8f4ab, v55
	v_mul_f32_e32 v138, 0x3f4c4adb, v70
	v_mul_f32_e32 v128, 0x3f3d2fb0, v72
	;; [unrolled: 1-line block ×3, first 2 shown]
	v_add_f32_e32 v94, v94, v93
	v_mul_f32_e32 v106, 0xbf763a35, v71
	v_fmac_f32_e32 v89, 0x3f2c7751, v64
	v_mul_f32_e32 v150, 0xbf2c7751, v67
	v_mul_f32_e32 v144, 0xbeb8f4ab, v74
	v_fmac_f32_e32 v86, 0xbf7ee86f, v55
	v_fmamk_f32 v114, v65, 0xbe8c1d8e, v106
	v_mul_f32_e32 v85, 0xbf59a7d5, v78
	v_add_f32_e32 v83, v1, v83
	s_delay_alu instid0(VALU_DEP_2) | instskip(NEXT) | instid1(VALU_DEP_1)
	v_fmamk_f32 v95, v58, 0x3f06c442, v85
	v_dual_add_f32 v95, v95, v94 :: v_dual_mul_f32 v94, 0x3f3d2fb0, v81
	v_add_f32_e32 v44, v101, v98
	v_fmamk_f32 v98, v51, 0xbf1a4643, v109
	v_fmac_f32_e32 v97, 0xbe3c28d5, v62
	s_delay_alu instid0(VALU_DEP_4) | instskip(SKIP_1) | instid1(VALU_DEP_4)
	v_fmamk_f32 v113, v62, 0x3f2c7751, v94
	v_fmac_f32_e32 v94, 0xbf2c7751, v62
	v_add_f32_e32 v98, v0, v98
	s_delay_alu instid0(VALU_DEP_1) | instskip(SKIP_1) | instid1(VALU_DEP_1)
	v_add_f32_e32 v98, v102, v98
	v_fmamk_f32 v102, v54, 0x3f6eb680, v111
	v_add_f32_e32 v98, v102, v98
	v_mul_f32_e32 v102, 0x3f7ee86f, v76
	s_delay_alu instid0(VALU_DEP_1) | instskip(NEXT) | instid1(VALU_DEP_1)
	v_dual_mul_f32 v93, 0x3dbcf732, v80 :: v_dual_fmamk_f32 v116, v59, 0x3dbcf732, v102
	v_fmamk_f32 v101, v60, 0xbf7ee86f, v93
	s_delay_alu instid0(VALU_DEP_1) | instskip(NEXT) | instid1(VALU_DEP_1)
	v_dual_add_f32 v108, v101, v95 :: v_dual_mul_f32 v101, 0xbf06c442, v73
	v_dual_mul_f32 v95, 0xbf7ba420, v82 :: v_dual_add_f32 v108, v113, v108
	s_delay_alu instid0(VALU_DEP_2) | instskip(NEXT) | instid1(VALU_DEP_2)
	v_fmamk_f32 v115, v57, 0xbf59a7d5, v101
	v_fmamk_f32 v113, v64, 0x3e3c28d5, v95
	s_delay_alu instid0(VALU_DEP_1) | instskip(SKIP_2) | instid1(VALU_DEP_3)
	v_dual_add_f32 v115, v115, v98 :: v_dual_add_f32 v118, v113, v108
	v_mul_f32_e32 v113, 0xbe8c1d8e, v75
	v_mul_f32_e32 v98, 0x3ee437d1, v72
	v_add_f32_e32 v116, v116, v115
	v_mul_f32_e32 v115, 0x3f3d2fb0, v79
	s_delay_alu instid0(VALU_DEP_4) | instskip(SKIP_2) | instid1(VALU_DEP_4)
	v_fmamk_f32 v117, v56, 0x3f763a35, v113
	v_fmac_f32_e32 v113, 0xbf763a35, v56
	v_fmac_f32_e32 v87, 0x3f4c4adb, v58
	v_fmamk_f32 v122, v55, 0xbf2c7751, v115
	s_delay_alu instid0(VALU_DEP_4) | instskip(NEXT) | instid1(VALU_DEP_1)
	v_dual_mul_f32 v108, 0xbf2c7751, v74 :: v_dual_add_f32 v117, v1, v117
	v_fmamk_f32 v119, v61, 0x3f3d2fb0, v108
	s_delay_alu instid0(VALU_DEP_1) | instskip(SKIP_2) | instid1(VALU_DEP_1)
	v_add_f32_e32 v119, v119, v116
	v_add_f32_e32 v44, v114, v44
	v_mul_f32_e32 v114, 0xbf59a7d5, v77
	v_fmamk_f32 v121, v53, 0xbf06c442, v114
	v_fmac_f32_e32 v114, 0x3f06c442, v53
	s_delay_alu instid0(VALU_DEP_2) | instskip(SKIP_2) | instid1(VALU_DEP_3)
	v_add_f32_e32 v121, v121, v117
	v_mul_f32_e32 v117, 0x3ee437d1, v78
	v_fmamk_f32 v120, v66, 0xbf65296c, v98
	v_dual_fmac_f32 v98, 0x3f65296c, v66 :: v_dual_add_f32 v29, v122, v121
	s_delay_alu instid0(VALU_DEP_3)
	v_fmamk_f32 v30, v58, 0x3f65296c, v117
	v_mul_f32_e32 v116, 0xbe3c28d5, v70
	v_add_f32_e32 v122, v3, v31
	v_mul_f32_e32 v31, 0x3f65296c, v71
	v_add_f32_e32 v3, v120, v118
	v_add_f32_e32 v29, v30, v29
	v_fmamk_f32 v121, v63, 0xbf7ba420, v116
	v_mul_f32_e32 v30, 0xbf763a35, v67
	v_fmamk_f32 v120, v65, 0x3ee437d1, v31
	s_delay_alu instid0(VALU_DEP_3) | instskip(SKIP_1) | instid1(VALU_DEP_1)
	v_dual_add_f32 v118, v121, v119 :: v_dual_fmamk_f32 v119, v60, 0x3e3c28d5, v28
	v_dual_add_f32 v121, v122, v25 :: v_dual_fmac_f32 v28, 0xbe3c28d5, v60
	v_dual_add_f32 v24, v119, v29 :: v_dual_add_f32 v119, v121, v27
	s_delay_alu instid0(VALU_DEP_1) | instskip(NEXT) | instid1(VALU_DEP_1)
	v_add_f32_e32 v21, v119, v21
	v_add_f32_e32 v23, v21, v23
	s_delay_alu instid0(VALU_DEP_1) | instskip(NEXT) | instid1(VALU_DEP_1)
	v_add_f32_e32 v17, v23, v17
	v_add_f32_e32 v17, v17, v19
	v_fmamk_f32 v19, v56, 0x3f7ee86f, v125
	v_mul_f32_e32 v27, 0x3f06c442, v68
	v_add_f32_e32 v121, v2, v26
	v_add_f32_e32 v2, v120, v118
	s_delay_alu instid0(VALU_DEP_3) | instskip(NEXT) | instid1(VALU_DEP_3)
	v_fmamk_f32 v124, v52, 0xbf59a7d5, v27
	v_dual_add_f32 v20, v121, v20 :: v_dual_mul_f32 v25, 0x3dbcf732, v81
	s_delay_alu instid0(VALU_DEP_1) | instskip(SKIP_1) | instid1(VALU_DEP_2)
	v_dual_mul_f32 v121, 0xbe3c28d5, v68 :: v_dual_add_f32 v22, v20, v22
	v_mul_f32_e32 v20, 0xbe3c28d5, v76
	v_dual_add_f32 v22, v22, v16 :: v_dual_fmamk_f32 v29, v51, 0xbe8c1d8e, v30
	s_delay_alu instid0(VALU_DEP_2) | instskip(SKIP_2) | instid1(VALU_DEP_4)
	v_fmamk_f32 v23, v59, 0xbf7ba420, v20
	v_mul_f32_e32 v16, 0x3f7ee86f, v74
	v_fma_f32 v20, 0xbf7ba420, v59, -v20
	v_add_f32_e32 v18, v22, v18
	v_dual_fmamk_f32 v122, v62, 0xbf7ee86f, v25 :: v_dual_add_f32 v123, v0, v29
	v_mul_f32_e32 v29, 0x3f2c7751, v69
	s_delay_alu instid0(VALU_DEP_3) | instskip(NEXT) | instid1(VALU_DEP_3)
	v_dual_fmac_f32 v115, 0x3f2c7751, v55 :: v_dual_add_f32 v12, v18, v12
	v_add_f32_e32 v118, v122, v24
	s_delay_alu instid0(VALU_DEP_3) | instskip(SKIP_1) | instid1(VALU_DEP_4)
	v_dual_add_f32 v122, v124, v123 :: v_dual_fmamk_f32 v123, v54, 0x3f3d2fb0, v29
	v_mul_f32_e32 v18, 0xbf7ba420, v77
	v_add_f32_e32 v14, v12, v14
	v_mul_f32_e32 v24, 0xbf65296c, v73
	v_mul_f32_e32 v124, 0x3dbcf732, v82
	v_add_f32_e32 v119, v123, v122
	v_mul_f32_e32 v26, 0x3f6eb680, v82
	v_add_f32_e32 v8, v14, v8
	v_mul_f32_e32 v122, 0x3f3d2fb0, v80
	v_mul_f32_e32 v123, 0x3f6eb680, v81
	v_mul_f32_e32 v82, 0xbf59a7d5, v82
	v_fmamk_f32 v120, v64, 0x3eb8f4ab, v26
	v_dual_add_f32 v8, v8, v10 :: v_dual_fmac_f32 v125, 0xbf7ee86f, v56
	v_fmac_f32_e32 v85, 0xbf06c442, v58
	s_delay_alu instid0(VALU_DEP_4) | instskip(NEXT) | instid1(VALU_DEP_4)
	v_fmamk_f32 v164, v64, 0x3f06c442, v82
	v_add_f32_e32 v118, v120, v118
	v_fmamk_f32 v120, v57, 0x3ee437d1, v24
	v_mul_f32_e32 v21, 0xbf1a4643, v72
	v_add_f32_e32 v4, v8, v4
	v_fmac_f32_e32 v84, 0x3f65296c, v53
	s_delay_alu instid0(VALU_DEP_4) | instskip(NEXT) | instid1(VALU_DEP_4)
	v_dual_mul_f32 v162, 0xbf2c7751, v68 :: v_dual_add_f32 v119, v120, v119
	v_dual_fmamk_f32 v22, v66, 0x3f4c4adb, v21 :: v_dual_add_f32 v13, v17, v13
	v_mul_f32_e32 v17, 0xbeb8f4ab, v70
	s_delay_alu instid0(VALU_DEP_3) | instskip(NEXT) | instid1(VALU_DEP_3)
	v_dual_add_f32 v4, v4, v6 :: v_dual_add_f32 v23, v23, v119
	v_dual_fmamk_f32 v119, v61, 0x3dbcf732, v16 :: v_dual_add_f32 v12, v22, v118
	s_delay_alu instid0(VALU_DEP_3) | instskip(NEXT) | instid1(VALU_DEP_3)
	v_dual_fmamk_f32 v118, v63, 0x3f6eb680, v17 :: v_dual_add_f32 v13, v13, v15
	v_add_f32_e32 v4, v4, v46
	s_delay_alu instid0(VALU_DEP_3) | instskip(SKIP_3) | instid1(VALU_DEP_4)
	v_add_f32_e32 v22, v119, v23
	v_add_f32_e32 v120, v1, v19
	v_fmamk_f32 v15, v53, 0x3e3c28d5, v18
	v_mul_f32_e32 v46, 0x3ee437d1, v75
	v_dual_add_f32 v83, v84, v83 :: v_dual_add_f32 v14, v118, v22
	s_delay_alu instid0(VALU_DEP_3) | instskip(SKIP_2) | instid1(VALU_DEP_4)
	v_dual_fmamk_f32 v118, v52, 0xbf7ba420, v121 :: v_dual_add_f32 v23, v15, v120
	v_mul_f32_e32 v120, 0xbf7ee86f, v67
	v_mul_f32_e32 v15, 0xbf4c4adb, v71
	v_add_f32_e32 v83, v86, v83
	v_dual_fmac_f32 v95, 0xbe3c28d5, v64 :: v_dual_fmac_f32 v18, 0xbe3c28d5, v53
	s_delay_alu instid0(VALU_DEP_4) | instskip(SKIP_3) | instid1(VALU_DEP_4)
	v_fmamk_f32 v10, v51, 0x3dbcf732, v120
	v_mul_f32_e32 v19, 0xbe8c1d8e, v79
	v_add_f32_e32 v9, v13, v9
	v_fmamk_f32 v22, v65, 0xbf1a4643, v15
	v_dual_fmac_f32 v91, 0x3f763a35, v53 :: v_dual_add_f32 v10, v0, v10
	s_delay_alu instid0(VALU_DEP_4) | instskip(NEXT) | instid1(VALU_DEP_4)
	v_fmamk_f32 v119, v55, 0xbf763a35, v19
	v_add_f32_e32 v9, v9, v11
	v_fma_f32 v86, 0x3f6eb680, v59, -v105
	v_fmac_f32_e32 v21, 0xbf4c4adb, v66
	s_delay_alu instid0(VALU_DEP_4) | instskip(NEXT) | instid1(VALU_DEP_4)
	v_dual_add_f32 v8, v118, v10 :: v_dual_add_f32 v13, v119, v23
	v_add_f32_e32 v5, v9, v5
	v_mul_f32_e32 v119, 0xbf59a7d5, v81
	v_mul_f32_e32 v23, 0x3f6eb680, v78
	;; [unrolled: 1-line block ×3, first 2 shown]
	s_delay_alu instid0(VALU_DEP_4) | instskip(NEXT) | instid1(VALU_DEP_4)
	v_dual_mul_f32 v10, 0xbf1a4643, v77 :: v_dual_add_f32 v5, v5, v7
	v_fmamk_f32 v9, v62, 0x3f06c442, v119
	v_fmamk_f32 v7, v54, 0xbe8c1d8e, v126
	s_delay_alu instid0(VALU_DEP_4)
	v_fmamk_f32 v6, v60, 0x3f65296c, v118
	v_fmac_f32_e32 v93, 0x3f7ee86f, v60
	v_fma_f32 v16, 0x3dbcf732, v61, -v16
	v_fmac_f32_e32 v117, 0xbf65296c, v58
	v_dual_add_f32 v7, v7, v8 :: v_dual_fmamk_f32 v8, v57, 0x3f6eb680, v127
	v_fmamk_f32 v11, v58, 0xbeb8f4ab, v23
	v_fmac_f32_e32 v25, 0x3f7ee86f, v62
	v_fma_f32 v24, 0x3ee437d1, v57, -v24
	v_fmac_f32_e32 v23, 0x3eb8f4ab, v58
	v_add_f32_e32 v7, v8, v7
	v_add_f32_e32 v13, v11, v13
	v_dual_fmamk_f32 v8, v59, 0x3ee437d1, v129 :: v_dual_add_f32 v11, v22, v14
	v_add_f32_e32 v5, v5, v47
	v_mul_f32_e32 v22, 0xbf7ba420, v79
	s_delay_alu instid0(VALU_DEP_3) | instskip(SKIP_2) | instid1(VALU_DEP_4)
	v_dual_add_f32 v6, v6, v13 :: v_dual_add_f32 v7, v8, v7
	v_fmamk_f32 v8, v61, 0xbf59a7d5, v135
	v_fmamk_f32 v13, v56, 0x3f65296c, v46
	;; [unrolled: 1-line block ×3, first 2 shown]
	s_delay_alu instid0(VALU_DEP_4) | instskip(NEXT) | instid1(VALU_DEP_4)
	v_dual_add_f32 v6, v9, v6 :: v_dual_fmamk_f32 v9, v64, 0xbf4c4adb, v132
	v_dual_add_f32 v7, v8, v7 :: v_dual_fmamk_f32 v8, v63, 0xbf1a4643, v138
	v_mul_f32_e32 v47, 0xbe8c1d8e, v78
	v_fma_f32 v17, 0x3f6eb680, v63, -v17
	s_delay_alu instid0(VALU_DEP_4) | instskip(NEXT) | instid1(VALU_DEP_4)
	v_add_f32_e32 v6, v9, v6
	v_dual_fmamk_f32 v9, v53, 0x3f4c4adb, v10 :: v_dual_add_f32 v8, v8, v7
	v_add_f32_e32 v7, v1, v13
	v_fmamk_f32 v13, v66, 0xbf2c7751, v128
	v_fmac_f32_e32 v10, 0xbf4c4adb, v53
	v_fmac_f32_e32 v19, 0x3f763a35, v55
	v_fma_f32 v27, 0xbf59a7d5, v52, -v27
	v_add_f32_e32 v9, v9, v7
	v_add_f32_e32 v7, v13, v6
	v_fmamk_f32 v13, v58, 0xbf763a35, v47
	v_fma_f32 v29, 0x3f3d2fb0, v54, -v29
	v_fmac_f32_e32 v119, 0xbf06c442, v62
	v_dual_add_f32 v9, v14, v9 :: v_dual_fmamk_f32 v14, v52, 0xbf1a4643, v140
	v_fmac_f32_e32 v82, 0xbf06c442, v64
	v_fma_f32 v15, 0xbf1a4643, v65, -v15
	s_delay_alu instid0(VALU_DEP_3) | instskip(SKIP_4) | instid1(VALU_DEP_4)
	v_dual_fmac_f32 v26, 0xbeb8f4ab, v64 :: v_dual_add_f32 v9, v13, v9
	v_fmamk_f32 v13, v60, 0xbf2c7751, v122
	v_fmac_f32_e32 v122, 0x3f2c7751, v60
	v_fmac_f32_e32 v22, 0x3e3c28d5, v55
	;; [unrolled: 1-line block ×3, first 2 shown]
	v_dual_fmac_f32 v132, 0x3f4c4adb, v64 :: v_dual_add_f32 v9, v13, v9
	v_fmamk_f32 v13, v62, 0x3eb8f4ab, v123
	v_fmac_f32_e32 v128, 0x3f2c7751, v66
	s_delay_alu instid0(VALU_DEP_2) | instskip(SKIP_3) | instid1(VALU_DEP_2)
	v_dual_fmac_f32 v46, 0xbf65296c, v56 :: v_dual_add_f32 v9, v13, v9
	v_fmamk_f32 v13, v64, 0x3f7ee86f, v124
	v_mul_f32_e32 v139, 0xbf65296c, v67
	v_fmac_f32_e32 v124, 0xbf7ee86f, v64
	v_fmamk_f32 v6, v51, 0x3ee437d1, v139
	s_delay_alu instid0(VALU_DEP_1) | instskip(NEXT) | instid1(VALU_DEP_1)
	v_add_f32_e32 v6, v0, v6
	v_add_f32_e32 v6, v14, v6
	v_fmamk_f32 v14, v54, 0xbf7ba420, v141
	s_delay_alu instid0(VALU_DEP_1) | instskip(SKIP_2) | instid1(VALU_DEP_2)
	v_add_f32_e32 v6, v14, v6
	v_fmamk_f32 v14, v57, 0xbe8c1d8e, v142
	v_fmac_f32_e32 v47, 0x3f763a35, v58
	v_add_f32_e32 v14, v14, v6
	v_add_f32_e32 v6, v130, v8
	;; [unrolled: 1-line block ×3, first 2 shown]
	v_fmamk_f32 v13, v61, 0x3f6eb680, v144
	s_delay_alu instid0(VALU_DEP_4) | instskip(NEXT) | instid1(VALU_DEP_1)
	v_dual_fmamk_f32 v130, v66, 0x3f06c442, v147 :: v_dual_add_f32 v9, v131, v14
	v_dual_fmamk_f32 v14, v56, 0x3f2c7751, v145 :: v_dual_add_f32 v9, v13, v9
	v_mul_f32_e32 v146, 0xbf7ee86f, v70
	v_mul_f32_e32 v148, 0x3dbcf732, v77
	s_delay_alu instid0(VALU_DEP_3) | instskip(NEXT) | instid1(VALU_DEP_3)
	v_dual_add_f32 v14, v1, v14 :: v_dual_mul_f32 v77, 0x3f3d2fb0, v77
	v_fmamk_f32 v13, v63, 0x3dbcf732, v146
	s_delay_alu instid0(VALU_DEP_3) | instskip(SKIP_1) | instid1(VALU_DEP_4)
	v_fmamk_f32 v131, v53, 0x3f7ee86f, v148
	v_fmac_f32_e32 v148, 0xbf7ee86f, v53
	v_fmamk_f32 v161, v53, 0x3f2c7751, v77
	s_delay_alu instid0(VALU_DEP_4) | instskip(SKIP_4) | instid1(VALU_DEP_4)
	v_add_f32_e32 v13, v13, v9
	v_mul_f32_e32 v149, 0xbf1a4643, v79
	v_dual_add_f32 v9, v130, v8 :: v_dual_add_f32 v8, v131, v14
	v_fmamk_f32 v131, v51, 0x3f3d2fb0, v150
	v_mul_f32_e32 v130, 0xbf7ee86f, v68
	v_fmamk_f32 v14, v55, 0x3f4c4adb, v149
	v_mul_f32_e32 v79, 0x3ee437d1, v79
	s_delay_alu instid0(VALU_DEP_4) | instskip(NEXT) | instid1(VALU_DEP_4)
	v_add_f32_e32 v134, v0, v131
	v_fmamk_f32 v136, v52, 0x3dbcf732, v130
	s_delay_alu instid0(VALU_DEP_4) | instskip(SKIP_2) | instid1(VALU_DEP_4)
	v_dual_mul_f32 v131, 0xbf4c4adb, v69 :: v_dual_add_f32 v8, v14, v8
	v_fmamk_f32 v69, v54, 0x3ee437d1, v163
	v_fmac_f32_e32 v123, 0xbeb8f4ab, v62
	v_add_f32_e32 v136, v136, v134
	v_mul_f32_e32 v134, 0xbe3c28d5, v73
	v_mul_f32_e32 v151, 0xbf7ba420, v78
	v_fmamk_f32 v137, v54, 0xbf1a4643, v131
	v_mul_f32_e32 v73, 0xbf7ee86f, v73
	v_mul_f32_e32 v78, 0x3dbcf732, v78
	v_fmamk_f32 v156, v57, 0xbf7ba420, v134
	s_delay_alu instid0(VALU_DEP_4) | instskip(SKIP_3) | instid1(VALU_DEP_4)
	v_dual_fmamk_f32 v14, v58, 0x3e3c28d5, v151 :: v_dual_add_f32 v137, v137, v136
	v_mul_f32_e32 v136, 0x3f06c442, v76
	v_mul_f32_e32 v76, 0xbf763a35, v76
	;; [unrolled: 1-line block ×3, first 2 shown]
	v_add_f32_e32 v8, v14, v8
	v_fmamk_f32 v14, v60, 0xbf06c442, v153
	v_dual_add_f32 v156, v156, v137 :: v_dual_fmamk_f32 v159, v59, 0xbf59a7d5, v136
	v_mul_f32_e32 v137, 0x3f763a35, v74
	s_delay_alu instid0(VALU_DEP_3) | instskip(SKIP_2) | instid1(VALU_DEP_2)
	v_dual_mul_f32 v81, 0xbf1a4643, v81 :: v_dual_add_f32 v8, v14, v8
	v_fmamk_f32 v14, v62, 0xbf763a35, v154
	v_mul_f32_e32 v74, 0xbf4c4adb, v74
	v_dual_fmac_f32 v147, 0xbf06c442, v66 :: v_dual_add_f32 v14, v14, v8
	v_dual_add_f32 v8, v157, v13 :: v_dual_mul_f32 v157, 0x3f6eb680, v75
	v_mul_f32_e32 v75, 0x3f6eb680, v72
	s_delay_alu instid0(VALU_DEP_3) | instskip(SKIP_4) | instid1(VALU_DEP_4)
	v_dual_add_f32 v13, v158, v14 :: v_dual_add_f32 v14, v159, v156
	v_fmamk_f32 v156, v61, 0xbe8c1d8e, v137
	v_mul_f32_e32 v158, 0x3f65296c, v70
	v_fmamk_f32 v159, v56, 0x3eb8f4ab, v157
	v_fmamk_f32 v160, v66, 0xbeb8f4ab, v75
	v_add_f32_e32 v14, v156, v14
	s_delay_alu instid0(VALU_DEP_3) | instskip(NEXT) | instid1(VALU_DEP_1)
	v_dual_fmamk_f32 v156, v63, 0x3ee437d1, v158 :: v_dual_add_f32 v159, v1, v159
	v_dual_fmac_f32 v155, 0x3f65296c, v64 :: v_dual_add_f32 v156, v156, v14
	s_delay_alu instid0(VALU_DEP_4) | instskip(SKIP_1) | instid1(VALU_DEP_4)
	v_add_f32_e32 v14, v160, v13
	v_mul_f32_e32 v160, 0xbeb8f4ab, v67
	v_add_f32_e32 v13, v161, v159
	v_fmamk_f32 v67, v55, 0x3f65296c, v79
	v_mul_f32_e32 v159, 0x3eb8f4ab, v71
	s_delay_alu instid0(VALU_DEP_4) | instskip(NEXT) | instid1(VALU_DEP_3)
	v_fmamk_f32 v161, v51, 0x3f6eb680, v160
	v_add_f32_e32 v13, v67, v13
	s_delay_alu instid0(VALU_DEP_2) | instskip(SKIP_1) | instid1(VALU_DEP_1)
	v_add_f32_e32 v68, v0, v161
	v_fmamk_f32 v161, v52, 0x3f3d2fb0, v162
	v_add_f32_e32 v68, v161, v68
	v_fmamk_f32 v161, v65, 0x3f6eb680, v159
	s_delay_alu instid0(VALU_DEP_2) | instskip(SKIP_3) | instid1(VALU_DEP_3)
	v_add_f32_e32 v68, v69, v68
	v_fmamk_f32 v69, v57, 0x3dbcf732, v73
	v_fmamk_f32 v67, v58, 0x3f7ee86f, v78
	v_fmac_f32_e32 v78, 0xbf7ee86f, v58
	v_dual_add_f32 v68, v69, v68 :: v_dual_fmamk_f32 v69, v59, 0xbe8c1d8e, v76
	s_delay_alu instid0(VALU_DEP_3) | instskip(SKIP_1) | instid1(VALU_DEP_3)
	v_dual_add_f32 v13, v67, v13 :: v_dual_fmac_f32 v154, 0x3f763a35, v62
	v_fmac_f32_e32 v157, 0xbeb8f4ab, v56
	v_add_f32_e32 v68, v69, v68
	v_fma_f32 v69, 0xbf59a7d5, v51, -v99
	v_fmamk_f32 v99, v61, 0xbf1a4643, v74
	s_delay_alu instid0(VALU_DEP_2) | instskip(NEXT) | instid1(VALU_DEP_2)
	v_dual_add_f32 v69, v0, v69 :: v_dual_mul_f32 v80, 0xbe8c1d8e, v80
	v_dual_add_f32 v68, v99, v68 :: v_dual_fmac_f32 v77, 0xbf2c7751, v53
	s_delay_alu instid0(VALU_DEP_2) | instskip(NEXT) | instid1(VALU_DEP_1)
	v_fmamk_f32 v67, v60, 0x3f763a35, v80
	v_add_f32_e32 v13, v67, v13
	v_fmamk_f32 v67, v62, 0x3f4c4adb, v81
	s_delay_alu instid0(VALU_DEP_1) | instskip(SKIP_2) | instid1(VALU_DEP_1)
	v_add_f32_e32 v67, v67, v13
	v_dual_add_f32 v13, v161, v156 :: v_dual_mul_f32 v156, 0xbf06c442, v70
	v_fma_f32 v70, 0x3ee437d1, v52, -v100
	v_dual_fmamk_f32 v84, v63, 0xbf59a7d5, v156 :: v_dual_add_f32 v69, v70, v69
	v_fma_f32 v70, 0x3dbcf732, v54, -v103
	v_fmac_f32_e32 v80, 0xbf763a35, v60
	s_delay_alu instid0(VALU_DEP_3) | instskip(NEXT) | instid1(VALU_DEP_3)
	v_add_f32_e32 v84, v84, v68
	v_add_f32_e32 v68, v70, v69
	v_fma_f32 v69, 0xbf1a4643, v57, -v104
	v_fmac_f32_e32 v75, 0x3eb8f4ab, v66
	s_delay_alu instid0(VALU_DEP_2) | instskip(SKIP_1) | instid1(VALU_DEP_2)
	v_add_f32_e32 v69, v69, v68
	v_add_f32_e32 v67, v164, v67
	v_dual_add_f32 v69, v86, v69 :: v_dual_add_f32 v86, v1, v90
	s_delay_alu instid0(VALU_DEP_1) | instskip(SKIP_1) | instid1(VALU_DEP_2)
	v_add_f32_e32 v86, v91, v86
	v_fmac_f32_e32 v81, 0xbf4c4adb, v62
	v_add_f32_e32 v86, v92, v86
	s_delay_alu instid0(VALU_DEP_1) | instskip(SKIP_3) | instid1(VALU_DEP_3)
	v_add_f32_e32 v85, v85, v86
	v_add_f32_e32 v86, v1, v113
	;; [unrolled: 1-line block ×3, first 2 shown]
	v_fma_f32 v87, 0xbe8c1d8e, v65, -v106
	v_add_f32_e32 v86, v114, v86
	s_delay_alu instid0(VALU_DEP_1) | instskip(NEXT) | instid1(VALU_DEP_1)
	v_dual_add_f32 v86, v115, v86 :: v_dual_mul_f32 v71, 0xbe3c28d5, v71
	v_add_f32_e32 v86, v117, v86
	v_mul_f32_e32 v72, 0xbf7ba420, v72
	s_delay_alu instid0(VALU_DEP_1) | instskip(NEXT) | instid1(VALU_DEP_1)
	v_dual_add_f32 v28, v28, v86 :: v_dual_fmamk_f32 v83, v66, 0x3e3c28d5, v72
	v_dual_add_f32 v25, v25, v28 :: v_dual_add_f32 v68, v83, v67
	v_fmamk_f32 v67, v65, 0xbf7ba420, v71
	v_fma_f32 v83, 0xbf7ba420, v61, -v112
	v_add_f32_e32 v28, v1, v125
	s_delay_alu instid0(VALU_DEP_4)
	v_add_f32_e32 v25, v26, v25
	v_fma_f32 v26, 0x3dbcf732, v51, -v120
	v_add_f32_e32 v67, v67, v84
	v_add_f32_e32 v69, v83, v69
	v_fma_f32 v83, 0x3f3d2fb0, v63, -v107
	v_fma_f32 v84, 0xbf1a4643, v51, -v109
	v_add_f32_e32 v18, v18, v28
	v_add_f32_e32 v26, v0, v26
	v_fma_f32 v28, 0xbf7ba420, v52, -v121
	v_add_f32_e32 v69, v83, v69
	v_add_f32_e32 v83, v0, v84
	v_fma_f32 v84, 0xbe8c1d8e, v52, -v110
	v_dual_add_f32 v19, v19, v18 :: v_dual_add_f32 v18, v21, v25
	v_add_f32_e32 v85, v93, v85
	v_add_f32_e32 v21, v28, v26
	s_delay_alu instid0(VALU_DEP_4)
	v_add_f32_e32 v83, v84, v83
	v_fma_f32 v84, 0x3f6eb680, v54, -v111
	v_fma_f32 v25, 0xbe8c1d8e, v54, -v126
	v_add_f32_e32 v85, v94, v85
	v_add_f32_e32 v19, v23, v19
	v_fma_f32 v23, 0x3f6eb680, v57, -v127
	v_add_f32_e32 v83, v84, v83
	v_fma_f32 v84, 0xbf59a7d5, v57, -v101
	v_add_f32_e32 v85, v95, v85
	v_add_f32_e32 v21, v25, v21
	v_dual_add_f32 v19, v118, v19 :: v_dual_add_f32 v70, v96, v70
	s_delay_alu instid0(VALU_DEP_4) | instskip(SKIP_1) | instid1(VALU_DEP_4)
	v_add_f32_e32 v83, v84, v83
	v_fma_f32 v84, 0x3dbcf732, v59, -v102
	v_add_f32_e32 v21, v23, v21
	v_fma_f32 v23, 0x3ee437d1, v59, -v129
	v_add_f32_e32 v19, v119, v19
	v_fmac_f32_e32 v79, 0xbf65296c, v55
	v_add_f32_e32 v83, v84, v83
	v_fma_f32 v84, 0x3f3d2fb0, v61, -v108
	s_delay_alu instid0(VALU_DEP_4) | instskip(SKIP_2) | instid1(VALU_DEP_4)
	v_dual_add_f32 v70, v97, v70 :: v_dual_add_f32 v19, v132, v19
	v_fma_f32 v26, 0xbf7ba420, v65, -v71
	v_add_f32_e32 v69, v87, v69
	v_add_f32_e32 v83, v84, v83
	v_fma_f32 v84, 0xbf7ba420, v63, -v116
	s_delay_alu instid0(VALU_DEP_1) | instskip(SKIP_3) | instid1(VALU_DEP_3)
	v_dual_fmac_f32 v72, 0xbe3c28d5, v66 :: v_dual_add_f32 v83, v84, v83
	v_fma_f32 v84, 0x3ee437d1, v65, -v31
	v_add_f32_e32 v31, v98, v85
	v_fma_f32 v85, 0xbe8c1d8e, v51, -v30
	v_add_f32_e32 v30, v84, v83
	s_delay_alu instid0(VALU_DEP_2) | instskip(NEXT) | instid1(VALU_DEP_1)
	v_dual_add_f32 v70, v89, v70 :: v_dual_add_f32 v83, v0, v85
	v_dual_add_f32 v70, v88, v70 :: v_dual_add_f32 v27, v27, v83
	s_delay_alu instid0(VALU_DEP_1) | instskip(NEXT) | instid1(VALU_DEP_1)
	v_add_f32_e32 v27, v29, v27
	v_add_f32_e32 v24, v24, v27
	v_mad_u32_u24 v27, 0x88, v32, 0
	s_delay_alu instid0(VALU_DEP_2) | instskip(SKIP_1) | instid1(VALU_DEP_2)
	v_add_f32_e32 v20, v20, v24
	v_fma_f32 v24, 0xbf59a7d5, v65, -v152
	v_add_f32_e32 v16, v16, v20
	v_add_f32_e32 v20, v23, v21
	v_fma_f32 v21, 0xbf59a7d5, v61, -v135
	v_fma_f32 v23, 0x3f3d2fb0, v65, -v133
	s_delay_alu instid0(VALU_DEP_4) | instskip(NEXT) | instid1(VALU_DEP_3)
	v_add_f32_e32 v16, v17, v16
	v_add_f32_e32 v20, v21, v20
	v_fma_f32 v21, 0xbf1a4643, v63, -v138
	s_delay_alu instid0(VALU_DEP_3) | instskip(SKIP_1) | instid1(VALU_DEP_3)
	v_add_f32_e32 v17, v15, v16
	v_fma_f32 v15, 0x3ee437d1, v51, -v139
	v_dual_add_f32 v16, v128, v19 :: v_dual_add_f32 v19, v21, v20
	v_add_f32_e32 v20, v1, v46
	v_fma_f32 v21, 0xbf1a4643, v52, -v140
	s_delay_alu instid0(VALU_DEP_2) | instskip(SKIP_1) | instid1(VALU_DEP_2)
	v_dual_add_f32 v15, v0, v15 :: v_dual_add_f32 v10, v10, v20
	v_fma_f32 v20, 0xbf7ba420, v54, -v141
	v_dual_add_f32 v15, v21, v15 :: v_dual_add_f32 v10, v22, v10
	s_delay_alu instid0(VALU_DEP_1) | instskip(SKIP_1) | instid1(VALU_DEP_1)
	v_add_f32_e32 v15, v20, v15
	v_fma_f32 v20, 0xbe8c1d8e, v57, -v142
	v_dual_add_f32 v10, v47, v10 :: v_dual_add_f32 v15, v20, v15
	v_fma_f32 v20, 0x3f3d2fb0, v59, -v143
	s_delay_alu instid0(VALU_DEP_1) | instskip(SKIP_1) | instid1(VALU_DEP_1)
	v_dual_add_f32 v10, v122, v10 :: v_dual_add_f32 v15, v20, v15
	v_fma_f32 v20, 0x3f6eb680, v61, -v144
	v_dual_add_f32 v10, v123, v10 :: v_dual_add_f32 v15, v20, v15
	v_fma_f32 v20, 0x3dbcf732, v63, -v146
	s_delay_alu instid0(VALU_DEP_2) | instskip(NEXT) | instid1(VALU_DEP_2)
	v_add_f32_e32 v10, v124, v10
	v_add_f32_e32 v22, v20, v15
	s_delay_alu instid0(VALU_DEP_2) | instskip(SKIP_1) | instid1(VALU_DEP_1)
	v_add_f32_e32 v20, v147, v10
	v_fma_f32 v10, 0x3f3d2fb0, v51, -v150
	v_dual_add_f32 v10, v0, v10 :: v_dual_add_f32 v15, v23, v19
	s_delay_alu instid0(VALU_DEP_4) | instskip(SKIP_3) | instid1(VALU_DEP_2)
	v_add_f32_e32 v19, v24, v22
	v_fma_f32 v22, 0x3f6eb680, v51, -v160
	v_fmac_f32_e32 v145, 0xbf2c7751, v56
	v_fma_f32 v23, 0x3dbcf732, v52, -v130
	v_dual_add_f32 v0, v0, v22 :: v_dual_add_f32 v21, v1, v145
	v_add_f32_e32 v1, v1, v157
	v_fma_f32 v22, 0x3f3d2fb0, v52, -v162
	s_delay_alu instid0(VALU_DEP_4) | instskip(SKIP_2) | instid1(VALU_DEP_4)
	v_add_f32_e32 v10, v23, v10
	v_fma_f32 v23, 0xbf1a4643, v54, -v131
	v_add_f32_e32 v21, v148, v21
	v_dual_add_f32 v1, v77, v1 :: v_dual_add_f32 v0, v22, v0
	v_fma_f32 v22, 0x3ee437d1, v54, -v163
	s_delay_alu instid0(VALU_DEP_4) | instskip(SKIP_1) | instid1(VALU_DEP_3)
	v_add_f32_e32 v10, v23, v10
	v_fma_f32 v23, 0xbf7ba420, v57, -v134
	v_dual_add_f32 v1, v79, v1 :: v_dual_add_f32 v0, v22, v0
	v_fma_f32 v22, 0x3dbcf732, v57, -v73
	s_delay_alu instid0(VALU_DEP_3)
	v_add_f32_e32 v10, v23, v10
	v_fma_f32 v23, 0xbf59a7d5, v59, -v136
	v_fmac_f32_e32 v149, 0xbf4c4adb, v55
	v_add_f32_e32 v1, v78, v1
	v_add_f32_e32 v0, v22, v0
	v_fma_f32 v22, 0xbe8c1d8e, v59, -v76
	v_add_f32_e32 v10, v23, v10
	v_fma_f32 v23, 0xbe8c1d8e, v61, -v137
	v_add_f32_e32 v21, v149, v21
	s_delay_alu instid0(VALU_DEP_4) | instskip(SKIP_1) | instid1(VALU_DEP_4)
	v_dual_add_f32 v1, v80, v1 :: v_dual_add_f32 v0, v22, v0
	v_fma_f32 v22, 0xbf1a4643, v61, -v74
	v_add_f32_e32 v10, v23, v10
	v_fmac_f32_e32 v151, 0xbe3c28d5, v58
	v_fma_f32 v23, 0x3ee437d1, v63, -v158
	s_delay_alu instid0(VALU_DEP_4) | instskip(SKIP_1) | instid1(VALU_DEP_4)
	v_dual_add_f32 v1, v81, v1 :: v_dual_add_f32 v0, v22, v0
	v_fma_f32 v22, 0xbf59a7d5, v63, -v156
	v_add_f32_e32 v21, v151, v21
	s_delay_alu instid0(VALU_DEP_4) | instskip(SKIP_2) | instid1(VALU_DEP_2)
	v_add_f32_e32 v10, v23, v10
	v_fma_f32 v23, 0x3f6eb680, v65, -v159
	v_dual_fmac_f32 v153, 0x3f06c442, v60 :: v_dual_add_f32 v24, v82, v1
	v_dual_add_f32 v25, v22, v0 :: v_dual_add_f32 v0, v23, v10
	s_delay_alu instid0(VALU_DEP_2) | instskip(NEXT) | instid1(VALU_DEP_1)
	v_dual_add_f32 v21, v153, v21 :: v_dual_add_f32 v22, v72, v24
	v_add_f32_e32 v21, v154, v21
	s_delay_alu instid0(VALU_DEP_1) | instskip(NEXT) | instid1(VALU_DEP_1)
	v_add_f32_e32 v21, v155, v21
	v_add_f32_e32 v1, v75, v21
	;; [unrolled: 1-line block ×3, first 2 shown]
	ds_store_2addr_b64 v27, v[4:5], v[67:68] offset1:1
	ds_store_2addr_b64 v27, v[13:14], v[8:9] offset0:2 offset1:3
	ds_store_2addr_b64 v27, v[6:7], v[11:12] offset0:4 offset1:5
	;; [unrolled: 1-line block ×7, first 2 shown]
	ds_store_b64 v27, v[21:22] offset:128
.LBB0_21:
	s_wait_alu 0xfffe
	s_or_b32 exec_lo, exec_lo, s2
	v_and_b32_e32 v0, 0xff, v32
	global_wb scope:SCOPE_SE
	s_wait_dscnt 0x0
	s_barrier_signal -1
	s_barrier_wait -1
	global_inv scope:SCOPE_SE
	v_mul_lo_u16 v0, 0xf1, v0
	s_delay_alu instid0(VALU_DEP_1) | instskip(NEXT) | instid1(VALU_DEP_1)
	v_lshrrev_b16 v28, 12, v0
	v_mul_lo_u16 v0, v28, 17
	s_delay_alu instid0(VALU_DEP_1) | instskip(NEXT) | instid1(VALU_DEP_1)
	v_sub_nc_u16 v0, v32, v0
	v_and_b32_e32 v44, 0xff, v0
	s_delay_alu instid0(VALU_DEP_1)
	v_lshlrev_b32_e32 v12, 6, v44
	s_clause 0x3
	global_load_b128 v[0:3], v12, s[4:5]
	global_load_b128 v[4:7], v12, s[4:5] offset:16
	global_load_b128 v[8:11], v12, s[4:5] offset:32
	;; [unrolled: 1-line block ×3, first 2 shown]
	ds_load_2addr_b64 v[16:19], v48 offset1:102
	ds_load_2addr_b64 v[20:23], v49 offset0:76 offset1:178
	ds_load_2addr_b64 v[24:27], v50 offset0:152 offset1:254
	v_and_b32_e32 v45, 0xffff, v28
	ds_load_2addr_b64 v[28:31], v33 offset0:100 offset1:202
	ds_load_b64 v[42:43], v48 offset:6528
	v_lshlrev_b32_e32 v44, 3, v44
	v_add_nc_u32_e32 v46, 0xc00, v48
	global_wb scope:SCOPE_SE
	s_wait_loadcnt_dscnt 0x0
	s_barrier_signal -1
	s_barrier_wait -1
	global_inv scope:SCOPE_SE
	v_mul_f32_e32 v47, v3, v21
	v_dual_mul_f32 v3, v3, v20 :: v_dual_mul_f32 v52, v9, v27
	v_mul_f32_e32 v50, v5, v23
	v_mul_u32_u24_e32 v45, 0x4c8, v45
	v_mul_f32_e32 v53, v29, v11
	s_delay_alu instid0(VALU_DEP_4) | instskip(NEXT) | instid1(VALU_DEP_4)
	v_dual_mul_f32 v51, v7, v25 :: v_dual_fmac_f32 v52, v8, v26
	v_dual_mul_f32 v7, v7, v24 :: v_dual_fmac_f32 v50, v4, v22
	s_delay_alu instid0(VALU_DEP_4)
	v_add3_u32 v44, 0, v45, v44
	v_mul_f32_e32 v45, v1, v19
	v_mul_f32_e32 v1, v1, v18
	v_fmac_f32_e32 v53, v28, v10
	v_mul_f32_e32 v55, v43, v15
	v_mul_f32_e32 v5, v5, v22
	v_dual_mul_f32 v9, v9, v26 :: v_dual_mul_f32 v54, v31, v13
	v_mul_f32_e32 v11, v28, v11
	v_dual_fmac_f32 v45, v0, v18 :: v_dual_sub_f32 v18, v50, v53
	v_fma_f32 v0, v0, v19, -v1
	v_fma_f32 v1, v2, v21, -v3
	v_fmac_f32_e32 v51, v6, v24
	v_fmac_f32_e32 v55, v42, v14
	v_mul_f32_e32 v13, v30, v13
	v_fmac_f32_e32 v47, v2, v20
	v_fma_f32 v2, v4, v23, -v5
	v_fma_f32 v3, v6, v25, -v7
	;; [unrolled: 1-line block ×3, first 2 shown]
	v_fmac_f32_e32 v54, v30, v12
	v_mul_f32_e32 v15, v42, v15
	v_fma_f32 v7, v29, v10, -v11
	v_add_f32_e32 v8, v45, v55
	v_fma_f32 v6, v31, v12, -v13
	v_add_f32_e32 v10, v47, v54
	v_fma_f32 v5, v43, v14, -v15
	s_delay_alu instid0(VALU_DEP_3)
	v_dual_fmamk_f32 v24, v8, 0x3f441b7d, v16 :: v_dual_add_f32 v11, v1, v6
	v_sub_f32_e32 v6, v1, v6
	v_dual_add_f32 v20, v51, v52 :: v_dual_add_f32 v13, v2, v7
	v_sub_f32_e32 v14, v45, v55
	v_sub_f32_e32 v2, v2, v7
	v_add_f32_e32 v12, v50, v53
	s_delay_alu instid0(VALU_DEP_4) | instskip(NEXT) | instid1(VALU_DEP_4)
	v_fmamk_f32 v28, v20, 0x3f441b7d, v16
	v_dual_add_f32 v9, v0, v5 :: v_dual_mul_f32 v22, 0x3f248dbb, v14
	v_sub_f32_e32 v15, v47, v54
	v_dual_sub_f32 v7, v51, v52 :: v_dual_fmamk_f32 v50, v10, 0x3f441b7d, v16
	v_sub_f32_e32 v5, v0, v5
	v_add_f32_e32 v0, v12, v16
	s_delay_alu instid0(VALU_DEP_4) | instskip(SKIP_2) | instid1(VALU_DEP_3)
	v_dual_sub_f32 v19, v3, v4 :: v_dual_fmac_f32 v22, 0x3f7c1c5c, v15
	v_dual_add_f32 v21, v3, v4 :: v_dual_fmac_f32 v24, 0x3e31d0d4, v10
	v_dual_fmamk_f32 v25, v9, 0x3f441b7d, v17 :: v_dual_add_f32 v42, v10, v8
	v_mul_f32_e32 v27, 0xbf248dbb, v19
	v_dual_add_f32 v43, v11, v9 :: v_dual_mul_f32 v26, 0xbf248dbb, v7
	v_dual_mul_f32 v23, 0x3f248dbb, v5 :: v_dual_add_f32 v30, v7, v14
	v_add_f32_e32 v31, v19, v5
	v_dual_add_f32 v1, v13, v17 :: v_dual_fmac_f32 v28, 0x3e31d0d4, v8
	v_mul_f32_e32 v47, 0x3f7c1c5c, v19
	v_dual_fmac_f32 v25, 0x3e31d0d4, v11 :: v_dual_fmac_f32 v50, 0x3e31d0d4, v20
	v_add_f32_e32 v54, v20, v42
	v_dual_add_f32 v42, v12, v42 :: v_dual_fmac_f32 v27, 0x3f7c1c5c, v5
	v_dual_add_f32 v55, v21, v43 :: v_dual_fmac_f32 v22, 0x3f5db3d7, v18
	v_dual_fmamk_f32 v29, v21, 0x3f441b7d, v17 :: v_dual_sub_f32 v30, v30, v15
	v_dual_mul_f32 v45, 0x3f7c1c5c, v7 :: v_dual_fmac_f32 v24, -0.5, v12
	v_dual_fmamk_f32 v53, v11, 0x3f441b7d, v17 :: v_dual_fmac_f32 v0, -0.5, v54
	v_dual_fmac_f32 v23, 0x3f7c1c5c, v6 :: v_dual_fmac_f32 v50, -0.5, v12
	v_fmac_f32_e32 v26, 0x3f7c1c5c, v14
	v_dual_sub_f32 v31, v31, v6 :: v_dual_fmac_f32 v22, 0x3eaf1d44, v7
	v_add_f32_e32 v43, v13, v43
	v_dual_fmac_f32 v27, 0xbf5db3d7, v2 :: v_dual_fmac_f32 v28, -0.5, v12
	s_delay_alu instid0(VALU_DEP_3) | instskip(SKIP_4) | instid1(VALU_DEP_4)
	v_fmac_f32_e32 v0, 0xbf5db3d7, v31
	v_fma_f32 v47, 0xbf248dbb, v6, -v47
	v_fma_f32 v45, 0xbf248dbb, v15, -v45
	v_dual_fmac_f32 v26, 0xbf5db3d7, v18 :: v_dual_fmac_f32 v1, -0.5, v55
	v_fmac_f32_e32 v28, 0xbf708fb2, v10
	v_fmac_f32_e32 v47, 0x3f5db3d7, v2
	v_dual_add_f32 v3, v3, v43 :: v_dual_fmac_f32 v50, 0xbf708fb2, v8
	v_fmac_f32_e32 v53, 0x3e31d0d4, v21
	v_fmac_f32_e32 v27, 0x3eaf1d44, v6
	;; [unrolled: 1-line block ×3, first 2 shown]
	v_dual_add_f32 v2, v51, v42 :: v_dual_fmac_f32 v29, 0x3e31d0d4, v9
	v_fmac_f32_e32 v24, 0xbf708fb2, v20
	v_dual_add_f32 v12, v4, v3 :: v_dual_fmac_f32 v53, -0.5, v13
	v_fmac_f32_e32 v26, 0x3eaf1d44, v15
	s_delay_alu instid0(VALU_DEP_4)
	v_dual_add_f32 v10, v52, v2 :: v_dual_fmac_f32 v29, -0.5, v13
	v_sub_f32_e32 v4, v28, v27
	v_fmac_f32_e32 v23, 0x3eaf1d44, v19
	v_fmac_f32_e32 v45, 0x3f5db3d7, v18
	v_dual_fmac_f32 v25, -0.5, v13 :: v_dual_mul_f32 v56, 0x3f5db3d7, v30
	v_fmac_f32_e32 v47, 0x3eaf1d44, v5
	s_delay_alu instid0(VALU_DEP_4) | instskip(NEXT) | instid1(VALU_DEP_4)
	v_dual_fmac_f32 v53, 0xbf708fb2, v9 :: v_dual_sub_f32 v2, v24, v23
	v_fmac_f32_e32 v45, 0x3eaf1d44, v14
	v_fmac_f32_e32 v29, 0xbf708fb2, v11
	;; [unrolled: 1-line block ×3, first 2 shown]
	v_dual_mul_f32 v57, 0x3f5db3d7, v31 :: v_dual_add_f32 v8, v16, v10
	s_delay_alu instid0(VALU_DEP_4)
	v_dual_sub_f32 v10, v50, v47 :: v_dual_add_f32 v11, v45, v53
	v_fmac_f32_e32 v1, 0x3f5db3d7, v30
	v_add_f32_e32 v5, v26, v29
	v_add_f32_e32 v3, v22, v25
	;; [unrolled: 1-line block ×3, first 2 shown]
	v_fma_f32 v14, 2.0, v47, v10
	v_fma_f32 v15, -2.0, v45, v11
	v_fma_f32 v6, 2.0, v57, v0
	v_fma_f32 v7, -2.0, v56, v1
	;; [unrolled: 2-line block ×4, first 2 shown]
	ds_store_2addr_b64 v44, v[8:9], v[2:3] offset1:17
	ds_store_2addr_b64 v44, v[4:5], v[0:1] offset0:34 offset1:51
	ds_store_2addr_b64 v44, v[10:11], v[14:15] offset0:68 offset1:85
	;; [unrolled: 1-line block ×3, first 2 shown]
	ds_store_b64 v44, v[16:17] offset:1088
	global_wb scope:SCOPE_SE
	s_wait_dscnt 0x0
	s_barrier_signal -1
	s_barrier_wait -1
	global_inv scope:SCOPE_SE
	ds_load_2addr_b64 v[0:3], v48 offset1:102
	ds_load_2addr_b64 v[12:15], v46 offset0:75 offset1:177
	ds_load_2addr_b64 v[4:7], v49 offset0:76 offset1:178
	;; [unrolled: 1-line block ×3, first 2 shown]
	s_and_saveexec_b32 s1, s0
	s_cbranch_execz .LBB0_23
; %bb.22:
	ds_load_b64 v[16:17], v48 offset:3264
	ds_load_b64 v[40:41], v48 offset:6936
.LBB0_23:
	s_wait_alu 0xfffe
	s_or_b32 exec_lo, exec_lo, s1
	v_add_co_u32 v21, s1, s4, v36
	s_wait_alu 0xf1ff
	v_add_co_ci_u32_e64 v22, s1, s5, v37, s1
	v_dual_mov_b32 v19, 0 :: v_dual_add_nc_u32 v20, 0x66, v32
	v_subrev_nc_u32_e32 v18, 51, v32
	global_load_b64 v[21:22], v[21:22], off offset:1088
	v_add_nc_u32_e32 v25, 0x132, v32
	v_cndmask_b32_e64 v18, v18, v20, s0
	s_wait_loadcnt_dscnt 0x2
	v_mul_f32_e32 v30, v22, v13
	s_delay_alu instid0(VALU_DEP_3) | instskip(NEXT) | instid1(VALU_DEP_2)
	v_dual_mul_f32 v22, v22, v12 :: v_dual_and_b32 v23, 0xffff, v25
	v_fmac_f32_e32 v30, v21, v12
	s_delay_alu instid0(VALU_DEP_2) | instskip(NEXT) | instid1(VALU_DEP_3)
	v_mul_u32_u24_e32 v23, 0x358b, v23
	v_fma_f32 v13, v21, v13, -v22
	s_delay_alu instid0(VALU_DEP_3) | instskip(NEXT) | instid1(VALU_DEP_3)
	v_dual_sub_f32 v21, v0, v30 :: v_dual_add_nc_u32 v12, 0x800, v48
	v_lshrrev_b32_e32 v26, 21, v23
	v_lshlrev_b64_e32 v[23:24], 3, v[18:19]
	s_delay_alu instid0(VALU_DEP_4) | instskip(NEXT) | instid1(VALU_DEP_4)
	v_sub_f32_e32 v22, v1, v13
	v_fma_f32 v0, v0, 2.0, -v21
	s_delay_alu instid0(VALU_DEP_4) | instskip(NEXT) | instid1(VALU_DEP_4)
	v_mul_lo_u16 v26, 0x99, v26
	v_add_co_u32 v23, s1, s4, v23
	s_wait_alu 0xf1ff
	v_add_co_ci_u32_e64 v24, s1, s5, v24, s1
	s_delay_alu instid0(VALU_DEP_3) | instskip(SKIP_3) | instid1(VALU_DEP_3)
	v_sub_nc_u16 v27, v25, v26
	v_add_co_u32 v25, s1, s4, v38
	s_wait_alu 0xf1ff
	v_add_co_ci_u32_e64 v26, s1, s5, v39, s1
	v_and_b32_e32 v27, 0xffff, v27
	s_clause 0x1
	global_load_b64 v[23:24], v[23:24], off offset:1088
	global_load_b64 v[25:26], v[25:26], off offset:1496
	v_lshlrev_b32_e32 v18, 3, v18
	v_cmp_lt_u32_e64 s1, 50, v32
	v_lshlrev_b32_e32 v29, 3, v27
	v_fma_f32 v1, v1, 2.0, -v22
	s_wait_alu 0xf1ff
	s_delay_alu instid0(VALU_DEP_3)
	v_cndmask_b32_e64 v31, 0, 0x990, s1
	global_load_b64 v[27:28], v29, s[4:5] offset:1088
	v_add_nc_u32_e32 v29, 0, v29
	global_wb scope:SCOPE_SE
	s_wait_loadcnt_dscnt 0x0
	s_barrier_signal -1
	s_barrier_wait -1
	global_inv scope:SCOPE_SE
	v_mul_f32_e32 v13, v24, v15
	v_mul_f32_e32 v24, v24, v14
	;; [unrolled: 1-line block ×4, first 2 shown]
	v_add3_u32 v18, 0, v31, v18
	v_fmac_f32_e32 v13, v23, v14
	v_fma_f32 v14, v23, v15, -v24
	v_dual_fmac_f32 v30, v25, v8 :: v_dual_mul_f32 v23, v28, v10
	v_mul_f32_e32 v15, v28, v11
	v_fma_f32 v24, v25, v9, -v26
	s_delay_alu instid0(VALU_DEP_4) | instskip(NEXT) | instid1(VALU_DEP_4)
	v_dual_sub_f32 v8, v2, v13 :: v_dual_sub_f32 v9, v3, v14
	v_fma_f32 v14, v27, v11, -v23
	s_delay_alu instid0(VALU_DEP_4) | instskip(NEXT) | instid1(VALU_DEP_4)
	v_fmac_f32_e32 v15, v27, v10
	v_dual_sub_f32 v10, v4, v30 :: v_dual_sub_f32 v11, v5, v24
	s_delay_alu instid0(VALU_DEP_4) | instskip(NEXT) | instid1(VALU_DEP_3)
	v_fma_f32 v2, v2, 2.0, -v8
	v_dual_sub_f32 v14, v7, v14 :: v_dual_sub_f32 v13, v6, v15
	v_fma_f32 v3, v3, 2.0, -v9
	s_delay_alu instid0(VALU_DEP_4) | instskip(SKIP_1) | instid1(VALU_DEP_4)
	v_fma_f32 v4, v4, 2.0, -v10
	v_fma_f32 v5, v5, 2.0, -v11
	;; [unrolled: 1-line block ×4, first 2 shown]
	v_add_nc_u32_e32 v15, 0x1000, v29
	ds_store_2addr_b64 v48, v[0:1], v[21:22] offset1:153
	ds_store_2addr_b64 v18, v[2:3], v[8:9] offset1:153
	ds_store_2addr_b64 v12, v[4:5], v[10:11] offset0:101 offset1:254
	ds_store_2addr_b64 v15, v[6:7], v[13:14] offset0:100 offset1:253
	s_and_saveexec_b32 s1, s0
	s_cbranch_execz .LBB0_25
; %bb.24:
	v_add_nc_u32_e32 v0, 0x198, v32
	s_delay_alu instid0(VALU_DEP_1) | instskip(NEXT) | instid1(VALU_DEP_1)
	v_and_b32_e32 v1, 0xffff, v0
	v_mul_u32_u24_e32 v1, 0x358b, v1
	s_delay_alu instid0(VALU_DEP_1) | instskip(NEXT) | instid1(VALU_DEP_1)
	v_lshrrev_b32_e32 v1, 21, v1
	v_mul_lo_u16 v1, 0x99, v1
	s_delay_alu instid0(VALU_DEP_1) | instskip(NEXT) | instid1(VALU_DEP_1)
	v_sub_nc_u16 v0, v0, v1
	v_and_b32_e32 v0, 0xffff, v0
	s_delay_alu instid0(VALU_DEP_1) | instskip(SKIP_4) | instid1(VALU_DEP_2)
	v_lshlrev_b32_e32 v2, 3, v0
	global_load_b64 v[0:1], v2, s[4:5] offset:1088
	s_wait_loadcnt 0x0
	v_mul_f32_e32 v3, v40, v1
	v_mul_f32_e32 v4, v41, v1
	v_fma_f32 v1, v41, v0, -v3
	s_delay_alu instid0(VALU_DEP_1) | instskip(NEXT) | instid1(VALU_DEP_1)
	v_dual_fmac_f32 v4, v40, v0 :: v_dual_sub_f32 v1, v17, v1
	v_sub_f32_e32 v0, v16, v4
	v_add_nc_u32_e32 v4, 0, v2
	s_delay_alu instid0(VALU_DEP_3) | instskip(NEXT) | instid1(VALU_DEP_3)
	v_fma_f32 v3, v17, 2.0, -v1
	v_fma_f32 v2, v16, 2.0, -v0
	s_delay_alu instid0(VALU_DEP_3)
	v_add_nc_u32_e32 v4, 0x1000, v4
	ds_store_2addr_b64 v4, v[2:3], v[0:1] offset0:100 offset1:253
.LBB0_25:
	s_wait_alu 0xfffe
	s_or_b32 exec_lo, exec_lo, s1
	v_dual_mov_b32 v1, v19 :: v_dual_lshlrev_b32 v18, 1, v32
	v_lshlrev_b32_e32 v0, 1, v20
	global_wb scope:SCOPE_SE
	s_wait_dscnt 0x0
	s_barrier_signal -1
	v_lshlrev_b64_e32 v[2:3], 3, v[18:19]
	s_barrier_wait -1
	v_lshlrev_b64_e32 v[0:1], 3, v[0:1]
	global_inv scope:SCOPE_SE
	v_add_co_u32 v2, s0, s4, v2
	s_wait_alu 0xf1ff
	v_add_co_ci_u32_e64 v3, s0, s5, v3, s0
	v_add_co_u32 v4, s0, s4, v0
	s_wait_alu 0xf1ff
	v_add_co_ci_u32_e64 v5, s0, s5, v1, s0
	s_clause 0x1
	global_load_b128 v[0:3], v[2:3], off offset:2312
	global_load_b128 v[4:7], v[4:5], off offset:2312
	v_add_nc_u32_e32 v18, 0x198, v18
	v_add_nc_u32_e32 v31, 0x400, v48
	;; [unrolled: 1-line block ×3, first 2 shown]
	s_delay_alu instid0(VALU_DEP_3) | instskip(NEXT) | instid1(VALU_DEP_1)
	v_lshlrev_b64_e32 v[8:9], 3, v[18:19]
	v_add_co_u32 v8, s0, s4, v8
	s_wait_alu 0xf1ff
	s_delay_alu instid0(VALU_DEP_2)
	v_add_co_ci_u32_e64 v9, s0, s5, v9, s0
	global_load_b128 v[8:11], v[8:9], off offset:2312
	ds_load_2addr_b64 v[13:16], v31 offset0:76 offset1:178
	ds_load_2addr_b64 v[17:20], v33 offset0:100 offset1:202
	;; [unrolled: 1-line block ×3, first 2 shown]
	ds_load_2addr_b64 v[25:28], v48 offset1:102
	ds_load_b64 v[29:30], v48 offset:6528
	global_wb scope:SCOPE_SE
	s_wait_loadcnt_dscnt 0x0
	s_barrier_signal -1
	s_barrier_wait -1
	global_inv scope:SCOPE_SE
	v_dual_mul_f32 v36, v1, v16 :: v_dual_mul_f32 v37, v3, v18
	v_mul_f32_e32 v1, v1, v15
	v_dual_mul_f32 v3, v3, v17 :: v_dual_mul_f32 v38, v5, v22
	v_mul_f32_e32 v5, v5, v21
	s_delay_alu instid0(VALU_DEP_4) | instskip(NEXT) | instid1(VALU_DEP_4)
	v_dual_mul_f32 v39, v7, v20 :: v_dual_fmac_f32 v36, v0, v15
	v_fma_f32 v0, v0, v16, -v1
	s_delay_alu instid0(VALU_DEP_4)
	v_fmac_f32_e32 v38, v4, v21
	v_fmac_f32_e32 v37, v2, v17
	v_fma_f32 v1, v2, v18, -v3
	v_fmac_f32_e32 v39, v6, v19
	v_mul_f32_e32 v16, v30, v11
	v_mul_f32_e32 v7, v7, v19
	v_fma_f32 v2, v4, v22, -v5
	v_mul_f32_e32 v3, v9, v23
	v_mul_f32_e32 v4, v29, v11
	;; [unrolled: 1-line block ×3, first 2 shown]
	v_fmac_f32_e32 v16, v29, v10
	v_fma_f32 v5, v6, v20, -v7
	v_fma_f32 v6, v8, v24, -v3
	;; [unrolled: 1-line block ×3, first 2 shown]
	v_sub_f32_e32 v10, v36, v37
	v_dual_add_f32 v4, v36, v37 :: v_dual_add_f32 v3, v25, v36
	v_add_f32_e32 v18, v38, v39
	v_fmac_f32_e32 v15, v8, v23
	v_add_f32_e32 v21, v2, v5
	v_add_f32_e32 v17, v27, v38
	v_dual_sub_f32 v19, v2, v5 :: v_dual_add_f32 v20, v28, v2
	v_dual_sub_f32 v7, v0, v1 :: v_dual_sub_f32 v22, v38, v39
	s_delay_alu instid0(VALU_DEP_4) | instskip(SKIP_4) | instid1(VALU_DEP_4)
	v_fmac_f32_e32 v28, -0.5, v21
	v_dual_add_f32 v9, v0, v1 :: v_dual_add_f32 v8, v26, v0
	v_add_f32_e32 v0, v3, v37
	v_fma_f32 v2, -0.5, v4, v25
	v_add_f32_e32 v4, v17, v39
	v_fma_f32 v3, -0.5, v9, v26
	v_fma_f32 v27, -0.5, v18, v27
	v_dual_add_f32 v18, v15, v16 :: v_dual_add_f32 v23, v6, v11
	v_add_f32_e32 v17, v13, v15
	v_add_f32_e32 v21, v14, v6
	;; [unrolled: 1-line block ×3, first 2 shown]
	v_dual_add_f32 v5, v20, v5 :: v_dual_sub_f32 v24, v15, v16
	v_sub_f32_e32 v20, v6, v11
	v_fmamk_f32 v6, v7, 0xbf5db3d7, v2
	v_fmac_f32_e32 v2, 0x3f5db3d7, v7
	v_fmamk_f32 v8, v19, 0xbf5db3d7, v27
	v_dual_fmamk_f32 v7, v10, 0x3f5db3d7, v3 :: v_dual_fmac_f32 v14, -0.5, v23
	v_fma_f32 v13, -0.5, v18, v13
	v_dual_fmac_f32 v3, 0xbf5db3d7, v10 :: v_dual_add_f32 v10, v17, v16
	s_delay_alu instid0(VALU_DEP_3)
	v_dual_fmac_f32 v27, 0x3f5db3d7, v19 :: v_dual_fmamk_f32 v16, v24, 0x3f5db3d7, v14
	v_fmamk_f32 v9, v22, 0x3f5db3d7, v28
	v_dual_fmac_f32 v28, 0xbf5db3d7, v22 :: v_dual_add_f32 v11, v21, v11
	v_dual_fmamk_f32 v15, v20, 0xbf5db3d7, v13 :: v_dual_fmac_f32 v14, 0xbf5db3d7, v24
	v_fmac_f32_e32 v13, 0x3f5db3d7, v20
	ds_store_2addr_b64 v48, v[0:1], v[4:5] offset1:102
	ds_store_2addr_b64 v33, v[2:3], v[27:28] offset0:100 offset1:202
	ds_store_2addr_b64 v31, v[10:11], v[6:7] offset0:76 offset1:178
	ds_store_2addr_b64 v12, v[8:9], v[15:16] offset0:152 offset1:254
	ds_store_b64 v48, v[13:14] offset:6528
	global_wb scope:SCOPE_SE
	s_wait_dscnt 0x0
	s_barrier_signal -1
	s_barrier_wait -1
	global_inv scope:SCOPE_SE
	s_and_saveexec_b32 s0, vcc_lo
	s_cbranch_execz .LBB0_27
; %bb.26:
	v_dual_mov_b32 v33, 0 :: v_dual_add_nc_u32 v6, 0x66, v32
	v_lshl_add_u32 v18, v32, 3, 0
	v_add_co_u32 v20, vcc_lo, s8, v34
	s_delay_alu instid0(VALU_DEP_3)
	v_lshlrev_b64_e32 v[4:5], 3, v[32:33]
	s_wait_alu 0xfffd
	v_add_co_ci_u32_e32 v21, vcc_lo, s9, v35, vcc_lo
	v_dual_mov_b32 v7, v33 :: v_dual_add_nc_u32 v8, 0xcc, v32
	v_dual_mov_b32 v9, v33 :: v_dual_add_nc_u32 v14, 0x400, v18
	ds_load_2addr_b64 v[0:3], v18 offset1:102
	v_add_co_u32 v10, vcc_lo, v20, v4
	s_wait_alu 0xfffd
	v_add_co_ci_u32_e32 v11, vcc_lo, v21, v5, vcc_lo
	v_lshlrev_b64_e32 v[12:13], 3, v[6:7]
	ds_load_2addr_b64 v[4:7], v14 offset0:76 offset1:178
	v_dual_mov_b32 v15, v33 :: v_dual_add_nc_u32 v14, 0x132, v32
	v_lshlrev_b64_e32 v[8:9], 3, v[8:9]
	v_dual_mov_b32 v17, v33 :: v_dual_add_nc_u32 v16, 0x198, v32
	v_add_co_u32 v12, vcc_lo, v20, v12
	s_delay_alu instid0(VALU_DEP_4)
	v_lshlrev_b64_e32 v[14:15], 3, v[14:15]
	s_wait_alu 0xfffd
	v_add_co_ci_u32_e32 v13, vcc_lo, v21, v13, vcc_lo
	v_add_co_u32 v8, vcc_lo, v20, v8
	s_wait_alu 0xfffd
	v_add_co_ci_u32_e32 v9, vcc_lo, v21, v9, vcc_lo
	v_add_co_u32 v14, vcc_lo, v20, v14
	s_wait_alu 0xfffd
	v_add_co_ci_u32_e32 v15, vcc_lo, v21, v15, vcc_lo
	s_wait_dscnt 0x1
	s_clause 0x1
	global_store_b64 v[10:11], v[0:1], off
	global_store_b64 v[12:13], v[2:3], off
	s_wait_dscnt 0x0
	s_clause 0x1
	global_store_b64 v[8:9], v[4:5], off
	global_store_b64 v[14:15], v[6:7], off
	v_lshlrev_b64_e32 v[4:5], 3, v[16:17]
	v_add_nc_u32_e32 v19, 0x800, v18
	v_dual_mov_b32 v7, v33 :: v_dual_add_nc_u32 v6, 0x1fe, v32
	v_dual_mov_b32 v15, v33 :: v_dual_add_nc_u32 v14, 0x1000, v18
	ds_load_2addr_b64 v[0:3], v19 offset0:152 offset1:254
	v_dual_mov_b32 v9, v33 :: v_dual_add_nc_u32 v8, 0x264, v32
	v_add_co_u32 v10, vcc_lo, v20, v4
	s_wait_alu 0xfffd
	v_add_co_ci_u32_e32 v11, vcc_lo, v21, v5, vcc_lo
	v_lshlrev_b64_e32 v[12:13], 3, v[6:7]
	ds_load_2addr_b64 v[4:7], v14 offset0:100 offset1:202
	v_add_nc_u32_e32 v14, 0x2ca, v32
	ds_load_b64 v[16:17], v18 offset:6528
	v_lshlrev_b64_e32 v[8:9], 3, v[8:9]
	v_add_nc_u32_e32 v32, 0x330, v32
	v_add_co_u32 v12, vcc_lo, v20, v12
	v_lshlrev_b64_e32 v[14:15], 3, v[14:15]
	s_wait_alu 0xfffd
	v_add_co_ci_u32_e32 v13, vcc_lo, v21, v13, vcc_lo
	v_add_co_u32 v8, vcc_lo, v20, v8
	v_lshlrev_b64_e32 v[18:19], 3, v[32:33]
	s_wait_alu 0xfffd
	v_add_co_ci_u32_e32 v9, vcc_lo, v21, v9, vcc_lo
	v_add_co_u32 v14, vcc_lo, v20, v14
	s_wait_alu 0xfffd
	v_add_co_ci_u32_e32 v15, vcc_lo, v21, v15, vcc_lo
	v_add_co_u32 v18, vcc_lo, v20, v18
	s_wait_alu 0xfffd
	v_add_co_ci_u32_e32 v19, vcc_lo, v21, v19, vcc_lo
	s_wait_dscnt 0x2
	s_clause 0x1
	global_store_b64 v[10:11], v[0:1], off
	global_store_b64 v[12:13], v[2:3], off
	s_wait_dscnt 0x1
	s_clause 0x1
	global_store_b64 v[8:9], v[4:5], off
	global_store_b64 v[14:15], v[6:7], off
	s_wait_dscnt 0x0
	global_store_b64 v[18:19], v[16:17], off
.LBB0_27:
	s_nop 0
	s_sendmsg sendmsg(MSG_DEALLOC_VGPRS)
	s_endpgm
	.section	.rodata,"a",@progbits
	.p2align	6, 0x0
	.amdhsa_kernel fft_rtc_back_len918_factors_17_9_2_3_wgs_102_tpt_102_halfLds_sp_ip_CI_unitstride_sbrr_C2R_dirReg
		.amdhsa_group_segment_fixed_size 0
		.amdhsa_private_segment_fixed_size 0
		.amdhsa_kernarg_size 88
		.amdhsa_user_sgpr_count 2
		.amdhsa_user_sgpr_dispatch_ptr 0
		.amdhsa_user_sgpr_queue_ptr 0
		.amdhsa_user_sgpr_kernarg_segment_ptr 1
		.amdhsa_user_sgpr_dispatch_id 0
		.amdhsa_user_sgpr_private_segment_size 0
		.amdhsa_wavefront_size32 1
		.amdhsa_uses_dynamic_stack 0
		.amdhsa_enable_private_segment 0
		.amdhsa_system_sgpr_workgroup_id_x 1
		.amdhsa_system_sgpr_workgroup_id_y 0
		.amdhsa_system_sgpr_workgroup_id_z 0
		.amdhsa_system_sgpr_workgroup_info 0
		.amdhsa_system_vgpr_workitem_id 0
		.amdhsa_next_free_vgpr 165
		.amdhsa_next_free_sgpr 32
		.amdhsa_reserve_vcc 1
		.amdhsa_float_round_mode_32 0
		.amdhsa_float_round_mode_16_64 0
		.amdhsa_float_denorm_mode_32 3
		.amdhsa_float_denorm_mode_16_64 3
		.amdhsa_fp16_overflow 0
		.amdhsa_workgroup_processor_mode 1
		.amdhsa_memory_ordered 1
		.amdhsa_forward_progress 0
		.amdhsa_round_robin_scheduling 0
		.amdhsa_exception_fp_ieee_invalid_op 0
		.amdhsa_exception_fp_denorm_src 0
		.amdhsa_exception_fp_ieee_div_zero 0
		.amdhsa_exception_fp_ieee_overflow 0
		.amdhsa_exception_fp_ieee_underflow 0
		.amdhsa_exception_fp_ieee_inexact 0
		.amdhsa_exception_int_div_zero 0
	.end_amdhsa_kernel
	.text
.Lfunc_end0:
	.size	fft_rtc_back_len918_factors_17_9_2_3_wgs_102_tpt_102_halfLds_sp_ip_CI_unitstride_sbrr_C2R_dirReg, .Lfunc_end0-fft_rtc_back_len918_factors_17_9_2_3_wgs_102_tpt_102_halfLds_sp_ip_CI_unitstride_sbrr_C2R_dirReg
                                        ; -- End function
	.section	.AMDGPU.csdata,"",@progbits
; Kernel info:
; codeLenInByte = 11200
; NumSgprs: 34
; NumVgprs: 165
; ScratchSize: 0
; MemoryBound: 0
; FloatMode: 240
; IeeeMode: 1
; LDSByteSize: 0 bytes/workgroup (compile time only)
; SGPRBlocks: 4
; VGPRBlocks: 20
; NumSGPRsForWavesPerEU: 34
; NumVGPRsForWavesPerEU: 165
; Occupancy: 9
; WaveLimiterHint : 1
; COMPUTE_PGM_RSRC2:SCRATCH_EN: 0
; COMPUTE_PGM_RSRC2:USER_SGPR: 2
; COMPUTE_PGM_RSRC2:TRAP_HANDLER: 0
; COMPUTE_PGM_RSRC2:TGID_X_EN: 1
; COMPUTE_PGM_RSRC2:TGID_Y_EN: 0
; COMPUTE_PGM_RSRC2:TGID_Z_EN: 0
; COMPUTE_PGM_RSRC2:TIDIG_COMP_CNT: 0
	.text
	.p2alignl 7, 3214868480
	.fill 96, 4, 3214868480
	.type	__hip_cuid_878cfc6c5827139c,@object ; @__hip_cuid_878cfc6c5827139c
	.section	.bss,"aw",@nobits
	.globl	__hip_cuid_878cfc6c5827139c
__hip_cuid_878cfc6c5827139c:
	.byte	0                               ; 0x0
	.size	__hip_cuid_878cfc6c5827139c, 1

	.ident	"AMD clang version 19.0.0git (https://github.com/RadeonOpenCompute/llvm-project roc-6.4.0 25133 c7fe45cf4b819c5991fe208aaa96edf142730f1d)"
	.section	".note.GNU-stack","",@progbits
	.addrsig
	.addrsig_sym __hip_cuid_878cfc6c5827139c
	.amdgpu_metadata
---
amdhsa.kernels:
  - .args:
      - .actual_access:  read_only
        .address_space:  global
        .offset:         0
        .size:           8
        .value_kind:     global_buffer
      - .offset:         8
        .size:           8
        .value_kind:     by_value
      - .actual_access:  read_only
        .address_space:  global
        .offset:         16
        .size:           8
        .value_kind:     global_buffer
      - .actual_access:  read_only
        .address_space:  global
        .offset:         24
        .size:           8
        .value_kind:     global_buffer
      - .offset:         32
        .size:           8
        .value_kind:     by_value
      - .actual_access:  read_only
        .address_space:  global
        .offset:         40
        .size:           8
        .value_kind:     global_buffer
      - .actual_access:  read_only
        .address_space:  global
        .offset:         48
        .size:           8
        .value_kind:     global_buffer
      - .offset:         56
        .size:           4
        .value_kind:     by_value
      - .actual_access:  read_only
        .address_space:  global
        .offset:         64
        .size:           8
        .value_kind:     global_buffer
      - .actual_access:  read_only
        .address_space:  global
        .offset:         72
        .size:           8
        .value_kind:     global_buffer
      - .address_space:  global
        .offset:         80
        .size:           8
        .value_kind:     global_buffer
    .group_segment_fixed_size: 0
    .kernarg_segment_align: 8
    .kernarg_segment_size: 88
    .language:       OpenCL C
    .language_version:
      - 2
      - 0
    .max_flat_workgroup_size: 102
    .name:           fft_rtc_back_len918_factors_17_9_2_3_wgs_102_tpt_102_halfLds_sp_ip_CI_unitstride_sbrr_C2R_dirReg
    .private_segment_fixed_size: 0
    .sgpr_count:     34
    .sgpr_spill_count: 0
    .symbol:         fft_rtc_back_len918_factors_17_9_2_3_wgs_102_tpt_102_halfLds_sp_ip_CI_unitstride_sbrr_C2R_dirReg.kd
    .uniform_work_group_size: 1
    .uses_dynamic_stack: false
    .vgpr_count:     165
    .vgpr_spill_count: 0
    .wavefront_size: 32
    .workgroup_processor_mode: 1
amdhsa.target:   amdgcn-amd-amdhsa--gfx1201
amdhsa.version:
  - 1
  - 2
...

	.end_amdgpu_metadata
